;; amdgpu-corpus repo=ROCm/rocFFT kind=compiled arch=gfx906 opt=O3
	.text
	.amdgcn_target "amdgcn-amd-amdhsa--gfx906"
	.amdhsa_code_object_version 6
	.protected	fft_rtc_back_len3240_factors_3_3_10_6_6_wgs_108_tpt_108_halfLds_half_ip_CI_unitstride_sbrr_C2R_dirReg ; -- Begin function fft_rtc_back_len3240_factors_3_3_10_6_6_wgs_108_tpt_108_halfLds_half_ip_CI_unitstride_sbrr_C2R_dirReg
	.globl	fft_rtc_back_len3240_factors_3_3_10_6_6_wgs_108_tpt_108_halfLds_half_ip_CI_unitstride_sbrr_C2R_dirReg
	.p2align	8
	.type	fft_rtc_back_len3240_factors_3_3_10_6_6_wgs_108_tpt_108_halfLds_half_ip_CI_unitstride_sbrr_C2R_dirReg,@function
fft_rtc_back_len3240_factors_3_3_10_6_6_wgs_108_tpt_108_halfLds_half_ip_CI_unitstride_sbrr_C2R_dirReg: ; @fft_rtc_back_len3240_factors_3_3_10_6_6_wgs_108_tpt_108_halfLds_half_ip_CI_unitstride_sbrr_C2R_dirReg
; %bb.0:
	s_load_dwordx2 s[2:3], s[4:5], 0x50
	s_load_dwordx4 s[8:11], s[4:5], 0x0
	s_load_dwordx2 s[12:13], s[4:5], 0x18
	v_mul_u32_u24_e32 v1, 0x25f, v0
	v_add_u32_sdwa v5, s6, v1 dst_sel:DWORD dst_unused:UNUSED_PAD src0_sel:DWORD src1_sel:WORD_1
	v_mov_b32_e32 v3, 0
	s_waitcnt lgkmcnt(0)
	v_cmp_lt_u64_e64 s[0:1], s[10:11], 2
	v_mov_b32_e32 v1, 0
	v_mov_b32_e32 v6, v3
	s_and_b64 vcc, exec, s[0:1]
	v_mov_b32_e32 v2, 0
	s_cbranch_vccnz .LBB0_8
; %bb.1:
	s_load_dwordx2 s[0:1], s[4:5], 0x10
	s_add_u32 s6, s12, 8
	s_addc_u32 s7, s13, 0
	v_mov_b32_e32 v1, 0
	v_mov_b32_e32 v2, 0
	s_waitcnt lgkmcnt(0)
	s_add_u32 s14, s0, 8
	s_addc_u32 s15, s1, 0
	s_mov_b64 s[16:17], 1
.LBB0_2:                                ; =>This Inner Loop Header: Depth=1
	s_load_dwordx2 s[18:19], s[14:15], 0x0
                                        ; implicit-def: $vgpr7_vgpr8
	s_waitcnt lgkmcnt(0)
	v_or_b32_e32 v4, s19, v6
	v_cmp_ne_u64_e32 vcc, 0, v[3:4]
	s_and_saveexec_b64 s[0:1], vcc
	s_xor_b64 s[20:21], exec, s[0:1]
	s_cbranch_execz .LBB0_4
; %bb.3:                                ;   in Loop: Header=BB0_2 Depth=1
	v_cvt_f32_u32_e32 v4, s18
	v_cvt_f32_u32_e32 v7, s19
	s_sub_u32 s0, 0, s18
	s_subb_u32 s1, 0, s19
	v_mac_f32_e32 v4, 0x4f800000, v7
	v_rcp_f32_e32 v4, v4
	v_mul_f32_e32 v4, 0x5f7ffffc, v4
	v_mul_f32_e32 v7, 0x2f800000, v4
	v_trunc_f32_e32 v7, v7
	v_mac_f32_e32 v4, 0xcf800000, v7
	v_cvt_u32_f32_e32 v7, v7
	v_cvt_u32_f32_e32 v4, v4
	v_mul_lo_u32 v8, s0, v7
	v_mul_hi_u32 v9, s0, v4
	v_mul_lo_u32 v11, s1, v4
	v_mul_lo_u32 v10, s0, v4
	v_add_u32_e32 v8, v9, v8
	v_add_u32_e32 v8, v8, v11
	v_mul_hi_u32 v9, v4, v10
	v_mul_lo_u32 v11, v4, v8
	v_mul_hi_u32 v13, v4, v8
	v_mul_hi_u32 v12, v7, v10
	v_mul_lo_u32 v10, v7, v10
	v_mul_hi_u32 v14, v7, v8
	v_add_co_u32_e32 v9, vcc, v9, v11
	v_addc_co_u32_e32 v11, vcc, 0, v13, vcc
	v_mul_lo_u32 v8, v7, v8
	v_add_co_u32_e32 v9, vcc, v9, v10
	v_addc_co_u32_e32 v9, vcc, v11, v12, vcc
	v_addc_co_u32_e32 v10, vcc, 0, v14, vcc
	v_add_co_u32_e32 v8, vcc, v9, v8
	v_addc_co_u32_e32 v9, vcc, 0, v10, vcc
	v_add_co_u32_e32 v4, vcc, v4, v8
	v_addc_co_u32_e32 v7, vcc, v7, v9, vcc
	v_mul_lo_u32 v8, s0, v7
	v_mul_hi_u32 v9, s0, v4
	v_mul_lo_u32 v10, s1, v4
	v_mul_lo_u32 v11, s0, v4
	v_add_u32_e32 v8, v9, v8
	v_add_u32_e32 v8, v8, v10
	v_mul_lo_u32 v12, v4, v8
	v_mul_hi_u32 v13, v4, v11
	v_mul_hi_u32 v14, v4, v8
	;; [unrolled: 1-line block ×3, first 2 shown]
	v_mul_lo_u32 v11, v7, v11
	v_mul_hi_u32 v9, v7, v8
	v_add_co_u32_e32 v12, vcc, v13, v12
	v_addc_co_u32_e32 v13, vcc, 0, v14, vcc
	v_mul_lo_u32 v8, v7, v8
	v_add_co_u32_e32 v11, vcc, v12, v11
	v_addc_co_u32_e32 v10, vcc, v13, v10, vcc
	v_addc_co_u32_e32 v9, vcc, 0, v9, vcc
	v_add_co_u32_e32 v8, vcc, v10, v8
	v_addc_co_u32_e32 v9, vcc, 0, v9, vcc
	v_add_co_u32_e32 v4, vcc, v4, v8
	v_addc_co_u32_e32 v9, vcc, v7, v9, vcc
	v_mad_u64_u32 v[7:8], s[0:1], v5, v9, 0
	v_mul_hi_u32 v10, v5, v4
	v_add_co_u32_e32 v11, vcc, v10, v7
	v_addc_co_u32_e32 v12, vcc, 0, v8, vcc
	v_mad_u64_u32 v[7:8], s[0:1], v6, v4, 0
	v_mad_u64_u32 v[9:10], s[0:1], v6, v9, 0
	v_add_co_u32_e32 v4, vcc, v11, v7
	v_addc_co_u32_e32 v4, vcc, v12, v8, vcc
	v_addc_co_u32_e32 v7, vcc, 0, v10, vcc
	v_add_co_u32_e32 v4, vcc, v4, v9
	v_addc_co_u32_e32 v9, vcc, 0, v7, vcc
	v_mul_lo_u32 v10, s19, v4
	v_mul_lo_u32 v11, s18, v9
	v_mad_u64_u32 v[7:8], s[0:1], s18, v4, 0
	v_add3_u32 v8, v8, v11, v10
	v_sub_u32_e32 v10, v6, v8
	v_mov_b32_e32 v11, s19
	v_sub_co_u32_e32 v7, vcc, v5, v7
	v_subb_co_u32_e64 v10, s[0:1], v10, v11, vcc
	v_subrev_co_u32_e64 v11, s[0:1], s18, v7
	v_subbrev_co_u32_e64 v10, s[0:1], 0, v10, s[0:1]
	v_cmp_le_u32_e64 s[0:1], s19, v10
	v_cndmask_b32_e64 v12, 0, -1, s[0:1]
	v_cmp_le_u32_e64 s[0:1], s18, v11
	v_cndmask_b32_e64 v11, 0, -1, s[0:1]
	v_cmp_eq_u32_e64 s[0:1], s19, v10
	v_cndmask_b32_e64 v10, v12, v11, s[0:1]
	v_add_co_u32_e64 v11, s[0:1], 2, v4
	v_addc_co_u32_e64 v12, s[0:1], 0, v9, s[0:1]
	v_add_co_u32_e64 v13, s[0:1], 1, v4
	v_addc_co_u32_e64 v14, s[0:1], 0, v9, s[0:1]
	v_subb_co_u32_e32 v8, vcc, v6, v8, vcc
	v_cmp_ne_u32_e64 s[0:1], 0, v10
	v_cmp_le_u32_e32 vcc, s19, v8
	v_cndmask_b32_e64 v10, v14, v12, s[0:1]
	v_cndmask_b32_e64 v12, 0, -1, vcc
	v_cmp_le_u32_e32 vcc, s18, v7
	v_cndmask_b32_e64 v7, 0, -1, vcc
	v_cmp_eq_u32_e32 vcc, s19, v8
	v_cndmask_b32_e32 v7, v12, v7, vcc
	v_cmp_ne_u32_e32 vcc, 0, v7
	v_cndmask_b32_e64 v7, v13, v11, s[0:1]
	v_cndmask_b32_e32 v8, v9, v10, vcc
	v_cndmask_b32_e32 v7, v4, v7, vcc
.LBB0_4:                                ;   in Loop: Header=BB0_2 Depth=1
	s_andn2_saveexec_b64 s[0:1], s[20:21]
	s_cbranch_execz .LBB0_6
; %bb.5:                                ;   in Loop: Header=BB0_2 Depth=1
	v_cvt_f32_u32_e32 v4, s18
	s_sub_i32 s20, 0, s18
	v_rcp_iflag_f32_e32 v4, v4
	v_mul_f32_e32 v4, 0x4f7ffffe, v4
	v_cvt_u32_f32_e32 v4, v4
	v_mul_lo_u32 v7, s20, v4
	v_mul_hi_u32 v7, v4, v7
	v_add_u32_e32 v4, v4, v7
	v_mul_hi_u32 v4, v5, v4
	v_mul_lo_u32 v7, v4, s18
	v_add_u32_e32 v8, 1, v4
	v_sub_u32_e32 v7, v5, v7
	v_subrev_u32_e32 v9, s18, v7
	v_cmp_le_u32_e32 vcc, s18, v7
	v_cndmask_b32_e32 v7, v7, v9, vcc
	v_cndmask_b32_e32 v4, v4, v8, vcc
	v_add_u32_e32 v8, 1, v4
	v_cmp_le_u32_e32 vcc, s18, v7
	v_cndmask_b32_e32 v7, v4, v8, vcc
	v_mov_b32_e32 v8, v3
.LBB0_6:                                ;   in Loop: Header=BB0_2 Depth=1
	s_or_b64 exec, exec, s[0:1]
	v_mul_lo_u32 v4, v8, s18
	v_mul_lo_u32 v11, v7, s19
	v_mad_u64_u32 v[9:10], s[0:1], v7, s18, 0
	s_load_dwordx2 s[0:1], s[6:7], 0x0
	s_add_u32 s16, s16, 1
	v_add3_u32 v4, v10, v11, v4
	v_sub_co_u32_e32 v5, vcc, v5, v9
	v_subb_co_u32_e32 v4, vcc, v6, v4, vcc
	s_waitcnt lgkmcnt(0)
	v_mul_lo_u32 v4, s0, v4
	v_mul_lo_u32 v6, s1, v5
	v_mad_u64_u32 v[1:2], s[0:1], s0, v5, v[1:2]
	s_addc_u32 s17, s17, 0
	s_add_u32 s6, s6, 8
	v_add3_u32 v2, v6, v2, v4
	v_mov_b32_e32 v4, s10
	v_mov_b32_e32 v5, s11
	s_addc_u32 s7, s7, 0
	v_cmp_ge_u64_e32 vcc, s[16:17], v[4:5]
	s_add_u32 s14, s14, 8
	s_addc_u32 s15, s15, 0
	s_cbranch_vccnz .LBB0_9
; %bb.7:                                ;   in Loop: Header=BB0_2 Depth=1
	v_mov_b32_e32 v5, v7
	v_mov_b32_e32 v6, v8
	s_branch .LBB0_2
.LBB0_8:
	v_mov_b32_e32 v8, v6
	v_mov_b32_e32 v7, v5
.LBB0_9:
	s_lshl_b64 s[0:1], s[10:11], 3
	s_add_u32 s0, s12, s0
	s_addc_u32 s1, s13, s1
	s_load_dwordx2 s[6:7], s[0:1], 0x0
	s_load_dwordx2 s[10:11], s[4:5], 0x20
	s_waitcnt lgkmcnt(0)
	v_mad_u64_u32 v[1:2], s[0:1], s6, v7, v[1:2]
	v_mul_lo_u32 v3, s6, v8
	v_mul_lo_u32 v4, s7, v7
	s_mov_b32 s0, 0x25ed098
	v_mul_hi_u32 v5, v0, s0
	v_cmp_gt_u64_e64 s[0:1], s[10:11], v[7:8]
	v_add3_u32 v2, v4, v2, v3
	v_lshlrev_b64 v[10:11], 2, v[1:2]
	v_mul_u32_u24_e32 v3, 0x6c, v5
	v_sub_u32_e32 v8, v0, v3
	s_and_saveexec_b64 s[4:5], s[0:1]
	s_cbranch_execz .LBB0_13
; %bb.10:
	v_mov_b32_e32 v9, 0
	v_mov_b32_e32 v0, s3
	v_add_co_u32_e32 v1, vcc, s2, v10
	v_lshlrev_b64 v[2:3], 2, v[8:9]
	v_addc_co_u32_e32 v0, vcc, v0, v11, vcc
	v_add_co_u32_e32 v2, vcc, v1, v2
	v_addc_co_u32_e32 v3, vcc, v0, v3, vcc
	s_movk_i32 s6, 0x1000
	v_add_co_u32_e32 v4, vcc, s6, v2
	v_addc_co_u32_e32 v5, vcc, 0, v3, vcc
	s_movk_i32 s6, 0x2000
	v_add_co_u32_e32 v6, vcc, s6, v2
	v_addc_co_u32_e32 v7, vcc, 0, v3, vcc
	v_add_co_u32_e32 v12, vcc, 0x3000, v2
	global_load_dword v14, v[2:3], off offset:1296
	global_load_dword v15, v[2:3], off offset:1728
	;; [unrolled: 1-line block ×5, first 2 shown]
	global_load_dword v19, v[2:3], off
	global_load_dword v20, v[2:3], off offset:864
	global_load_dword v21, v[2:3], off offset:432
	v_addc_co_u32_e32 v13, vcc, 0, v3, vcc
	global_load_dword v22, v[2:3], off offset:3456
	global_load_dword v23, v[2:3], off offset:3888
	;; [unrolled: 1-line block ×15, first 2 shown]
                                        ; kill: killed $vgpr4 killed $vgpr5
                                        ; kill: killed $vgpr2 killed $vgpr3
	global_load_dword v2, v[6:7], off offset:1744
	global_load_dword v3, v[6:7], off offset:2176
	;; [unrolled: 1-line block ×7, first 2 shown]
	v_lshl_add_u32 v6, v8, 2, 0
	s_movk_i32 s6, 0x6b
	v_add_u32_e32 v7, 0x200, v6
	v_cmp_eq_u32_e32 vcc, s6, v8
	v_add_u32_e32 v12, 0x600, v6
	v_add_u32_e32 v13, 0x800, v6
	;; [unrolled: 1-line block ×13, first 2 shown]
	s_waitcnt vmcnt(23)
	ds_write2_b32 v7, v20, v14 offset0:88 offset1:196
	ds_write2_b32 v12, v15, v16 offset0:48 offset1:156
	ds_write2_b32 v13, v17, v18 offset0:136 offset1:244
	s_waitcnt vmcnt(20)
	ds_write2_b32 v40, v22, v23 offset0:96 offset1:204
	ds_write2_b32 v6, v19, v21 offset1:108
	s_waitcnt vmcnt(18)
	ds_write2_b32 v41, v24, v25 offset0:56 offset1:164
	s_waitcnt vmcnt(16)
	ds_write2_b32 v42, v26, v27 offset0:16 offset1:124
	;; [unrolled: 2-line block ×10, first 2 shown]
	s_and_saveexec_b64 s[6:7], vcc
	s_cbranch_execz .LBB0_12
; %bb.11:
	v_add_co_u32_e32 v1, vcc, 0x3000, v1
	v_addc_co_u32_e32 v2, vcc, 0, v0, vcc
	global_load_dword v0, v[1:2], off offset:672
	v_mov_b32_e32 v8, 0x6b
	s_waitcnt vmcnt(0)
	ds_write_b32 v9, v0 offset:12960
.LBB0_12:
	s_or_b64 exec, exec, s[6:7]
.LBB0_13:
	s_or_b64 exec, exec, s[4:5]
	v_lshlrev_b32_e32 v0, 2, v8
	v_add_u32_e32 v19, 0, v0
	s_waitcnt lgkmcnt(0)
	s_barrier
	v_sub_u32_e32 v2, 0, v0
	ds_read_u16 v5, v19
	ds_read_u16 v6, v2 offset:12960
	s_add_u32 s6, s8, 0x3294
	s_addc_u32 s7, s9, 0
	v_cmp_ne_u32_e32 vcc, 0, v8
                                        ; implicit-def: $vgpr0_vgpr1
	s_waitcnt lgkmcnt(0)
	v_add_f16_e32 v3, v6, v5
	v_sub_f16_e32 v4, v5, v6
	s_and_saveexec_b64 s[4:5], vcc
	s_xor_b64 s[4:5], exec, s[4:5]
	s_cbranch_execz .LBB0_15
; %bb.14:
	v_mov_b32_e32 v9, 0
	v_lshlrev_b64 v[0:1], 2, v[8:9]
	v_mov_b32_e32 v3, s7
	v_add_co_u32_e32 v0, vcc, s6, v0
	v_addc_co_u32_e32 v1, vcc, v3, v1, vcc
	global_load_dword v0, v[0:1], off
	ds_read_u16 v1, v2 offset:12962
	ds_read_u16 v3, v19 offset:2
	v_add_f16_e32 v4, v6, v5
	v_sub_f16_e32 v5, v5, v6
	s_waitcnt lgkmcnt(0)
	v_add_f16_e32 v6, v1, v3
	v_sub_f16_e32 v1, v3, v1
	s_waitcnt vmcnt(0)
	v_lshrrev_b32_e32 v3, 16, v0
	v_fma_f16 v7, v5, v3, v4
	v_fma_f16 v12, v6, v3, v1
	v_fma_f16 v13, -v5, v3, v4
	v_fma_f16 v1, v6, v3, -v1
	v_fma_f16 v3, -v0, v6, v7
	v_fma_f16 v4, v5, v0, v12
	v_fma_f16 v6, v0, v6, v13
	;; [unrolled: 1-line block ×3, first 2 shown]
	v_pack_b32_f16 v0, v6, v0
	ds_write_b32 v2, v0 offset:12960
	v_mov_b32_e32 v0, v8
	v_mov_b32_e32 v1, v9
.LBB0_15:
	s_andn2_saveexec_b64 s[4:5], s[4:5]
	s_cbranch_execz .LBB0_17
; %bb.16:
	v_mov_b32_e32 v5, 0
	ds_read_b32 v0, v5 offset:6480
	s_mov_b32 s10, 0xc0004000
	s_waitcnt lgkmcnt(0)
	v_pk_mul_f16 v6, v0, s10
	v_mov_b32_e32 v0, 0
	v_mov_b32_e32 v1, 0
	ds_write_b32 v5, v6 offset:6480
.LBB0_17:
	s_or_b64 exec, exec, s[4:5]
	v_lshlrev_b64 v[0:1], 2, v[0:1]
	v_mov_b32_e32 v5, s7
	v_add_co_u32_e32 v0, vcc, s6, v0
	v_addc_co_u32_e32 v1, vcc, v5, v1, vcc
	global_load_dword v5, v[0:1], off offset:432
	global_load_dword v6, v[0:1], off offset:864
	;; [unrolled: 1-line block ×4, first 2 shown]
	s_mov_b32 s4, 0x5040100
	v_perm_b32 v3, v4, v3, s4
	ds_write_b32 v19, v3
	ds_read_b32 v3, v19 offset:432
	ds_read_b32 v4, v2 offset:12528
	global_load_dword v12, v[0:1], off offset:2160
	global_load_dword v13, v[0:1], off offset:2592
	global_load_dword v14, v[0:1], off offset:3024
	global_load_dword v15, v[0:1], off offset:3456
	s_movk_i32 s4, 0x1000
	v_add_u32_e32 v30, 0x1000, v19
	v_add_u32_e32 v28, 0x2000, v19
	s_waitcnt lgkmcnt(0)
	v_add_f16_e32 v16, v3, v4
	v_add_f16_sdwa v17, v4, v3 dst_sel:DWORD dst_unused:UNUSED_PAD src0_sel:WORD_1 src1_sel:WORD_1
	v_sub_f16_e32 v18, v3, v4
	v_sub_f16_sdwa v3, v3, v4 dst_sel:DWORD dst_unused:UNUSED_PAD src0_sel:WORD_1 src1_sel:WORD_1
	v_add_u32_e32 v27, 0x200, v19
	s_mov_b32 s5, 0xffff
	v_add_u32_e32 v26, 0x1400, v19
	v_add_u32_e32 v23, 0x2400, v19
	;; [unrolled: 1-line block ×8, first 2 shown]
	s_mov_b32 s6, 0xe38f
	s_mov_b32 s7, 0xbb9c
	;; [unrolled: 1-line block ×3, first 2 shown]
	s_movk_i32 s11, 0x34f2
	s_movk_i32 s12, 0x3b9c
	;; [unrolled: 1-line block ×3, first 2 shown]
	s_mov_b32 s14, 0xb4f2
	s_mov_b32 s15, 0xba79
	s_waitcnt vmcnt(7)
	v_lshrrev_b32_e32 v4, 16, v5
	v_fma_f16 v20, v18, v4, v16
	v_fma_f16 v21, v17, v4, v3
	v_fma_f16 v16, -v18, v4, v16
	v_fma_f16 v3, v17, v4, -v3
	v_fma_f16 v4, -v5, v17, v20
	v_fma_f16 v20, v18, v5, v21
	v_fma_f16 v16, v5, v17, v16
	;; [unrolled: 1-line block ×3, first 2 shown]
	v_pack_b32_f16 v4, v4, v20
	v_pack_b32_f16 v3, v16, v3
	ds_write_b32 v19, v4 offset:432
	ds_write_b32 v2, v3 offset:12528
	ds_read_b32 v3, v19 offset:864
	ds_read_b32 v4, v2 offset:12096
	s_waitcnt vmcnt(6)
	v_lshrrev_b32_e32 v5, 16, v6
	v_add_u32_e32 v21, 0x600, v19
	s_waitcnt lgkmcnt(0)
	v_add_f16_e32 v16, v3, v4
	v_add_f16_sdwa v17, v4, v3 dst_sel:DWORD dst_unused:UNUSED_PAD src0_sel:WORD_1 src1_sel:WORD_1
	v_sub_f16_e32 v18, v3, v4
	v_sub_f16_sdwa v3, v3, v4 dst_sel:DWORD dst_unused:UNUSED_PAD src0_sel:WORD_1 src1_sel:WORD_1
	v_fma_f16 v4, v18, v5, v16
	v_fma_f16 v20, v17, v5, v3
	v_fma_f16 v16, -v18, v5, v16
	v_fma_f16 v3, v17, v5, -v3
	v_fma_f16 v4, -v6, v17, v4
	v_fma_f16 v5, v18, v6, v20
	v_fma_f16 v16, v6, v17, v16
	;; [unrolled: 1-line block ×3, first 2 shown]
	v_pack_b32_f16 v4, v4, v5
	v_pack_b32_f16 v3, v16, v3
	ds_write_b32 v19, v4 offset:864
	ds_write_b32 v2, v3 offset:12096
	ds_read_b32 v3, v19 offset:1296
	ds_read_b32 v4, v2 offset:11664
	s_waitcnt vmcnt(5)
	v_lshrrev_b32_e32 v5, 16, v7
	v_add_u32_e32 v20, 0x1600, v19
	s_waitcnt lgkmcnt(0)
	v_add_f16_e32 v6, v3, v4
	v_add_f16_sdwa v16, v4, v3 dst_sel:DWORD dst_unused:UNUSED_PAD src0_sel:WORD_1 src1_sel:WORD_1
	v_sub_f16_e32 v17, v3, v4
	v_sub_f16_sdwa v3, v3, v4 dst_sel:DWORD dst_unused:UNUSED_PAD src0_sel:WORD_1 src1_sel:WORD_1
	v_fma_f16 v4, v17, v5, v6
	v_fma_f16 v18, v16, v5, v3
	v_fma_f16 v6, -v17, v5, v6
	v_fma_f16 v3, v16, v5, -v3
	v_fma_f16 v4, -v7, v16, v4
	v_fma_f16 v5, v17, v7, v18
	v_fma_f16 v6, v7, v16, v6
	;; [unrolled: 1-line block ×3, first 2 shown]
	v_pack_b32_f16 v4, v4, v5
	v_pack_b32_f16 v3, v6, v3
	ds_write_b32 v19, v4 offset:1296
	ds_write_b32 v2, v3 offset:11664
	ds_read_b32 v3, v19 offset:1728
	ds_read_b32 v4, v2 offset:11232
	s_waitcnt vmcnt(4)
	v_lshrrev_b32_e32 v5, 16, v9
	s_waitcnt lgkmcnt(0)
	v_add_f16_e32 v6, v3, v4
	v_add_f16_sdwa v7, v4, v3 dst_sel:DWORD dst_unused:UNUSED_PAD src0_sel:WORD_1 src1_sel:WORD_1
	v_sub_f16_e32 v16, v3, v4
	v_sub_f16_sdwa v3, v3, v4 dst_sel:DWORD dst_unused:UNUSED_PAD src0_sel:WORD_1 src1_sel:WORD_1
	v_fma_f16 v4, v16, v5, v6
	v_fma_f16 v17, v7, v5, v3
	v_fma_f16 v6, -v16, v5, v6
	v_fma_f16 v3, v7, v5, -v3
	v_fma_f16 v4, -v9, v7, v4
	v_fma_f16 v5, v16, v9, v17
	v_fma_f16 v6, v9, v7, v6
	;; [unrolled: 1-line block ×3, first 2 shown]
	v_pack_b32_f16 v4, v4, v5
	v_pack_b32_f16 v3, v6, v3
	ds_write_b32 v19, v4 offset:1728
	ds_write_b32 v2, v3 offset:11232
	ds_read_b32 v3, v19 offset:2160
	ds_read_b32 v4, v2 offset:10800
	s_waitcnt vmcnt(3)
	v_lshrrev_b32_e32 v6, 16, v12
	global_load_dword v5, v[0:1], off offset:3888
	v_add_co_u32_e32 v0, vcc, s4, v0
	s_waitcnt lgkmcnt(0)
	v_add_f16_e32 v7, v3, v4
	v_add_f16_sdwa v9, v4, v3 dst_sel:DWORD dst_unused:UNUSED_PAD src0_sel:WORD_1 src1_sel:WORD_1
	v_sub_f16_e32 v16, v3, v4
	v_sub_f16_sdwa v3, v3, v4 dst_sel:DWORD dst_unused:UNUSED_PAD src0_sel:WORD_1 src1_sel:WORD_1
	v_fma_f16 v4, v16, v6, v7
	v_fma_f16 v17, v9, v6, v3
	v_fma_f16 v7, -v16, v6, v7
	v_fma_f16 v3, v9, v6, -v3
	v_fma_f16 v4, -v12, v9, v4
	v_fma_f16 v6, v16, v12, v17
	v_fma_f16 v7, v12, v9, v7
	;; [unrolled: 1-line block ×3, first 2 shown]
	v_pack_b32_f16 v4, v4, v6
	v_pack_b32_f16 v3, v7, v3
	ds_write_b32 v19, v4 offset:2160
	ds_write_b32 v2, v3 offset:10800
	ds_read_b32 v3, v19 offset:2592
	ds_read_b32 v4, v2 offset:10368
	s_waitcnt vmcnt(3)
	v_lshrrev_b32_e32 v7, 16, v13
	v_addc_co_u32_e32 v1, vcc, 0, v1, vcc
	global_load_dword v6, v[0:1], off offset:224
	s_waitcnt lgkmcnt(0)
	v_add_f16_e32 v9, v3, v4
	v_add_f16_sdwa v12, v4, v3 dst_sel:DWORD dst_unused:UNUSED_PAD src0_sel:WORD_1 src1_sel:WORD_1
	v_sub_f16_e32 v16, v3, v4
	v_sub_f16_sdwa v3, v3, v4 dst_sel:DWORD dst_unused:UNUSED_PAD src0_sel:WORD_1 src1_sel:WORD_1
	v_fma_f16 v4, v16, v7, v9
	v_fma_f16 v17, v12, v7, v3
	v_fma_f16 v9, -v16, v7, v9
	v_fma_f16 v3, v12, v7, -v3
	v_fma_f16 v4, -v13, v12, v4
	v_fma_f16 v7, v16, v13, v17
	v_fma_f16 v9, v13, v12, v9
	;; [unrolled: 1-line block ×3, first 2 shown]
	v_pack_b32_f16 v4, v4, v7
	v_pack_b32_f16 v3, v9, v3
	ds_write_b32 v19, v4 offset:2592
	ds_write_b32 v2, v3 offset:10368
	ds_read_b32 v3, v19 offset:3024
	ds_read_b32 v4, v2 offset:9936
	s_waitcnt vmcnt(3)
	v_lshrrev_b32_e32 v7, 16, v14
	s_movk_i32 s4, 0x3aee
	s_waitcnt lgkmcnt(0)
	v_add_f16_e32 v9, v3, v4
	v_add_f16_sdwa v12, v4, v3 dst_sel:DWORD dst_unused:UNUSED_PAD src0_sel:WORD_1 src1_sel:WORD_1
	v_sub_f16_e32 v13, v3, v4
	v_sub_f16_sdwa v3, v3, v4 dst_sel:DWORD dst_unused:UNUSED_PAD src0_sel:WORD_1 src1_sel:WORD_1
	v_fma_f16 v4, v13, v7, v9
	v_fma_f16 v16, v12, v7, v3
	v_fma_f16 v4, -v14, v12, v4
	v_fma_f16 v16, v13, v14, v16
	v_pack_b32_f16 v4, v4, v16
	ds_write_b32 v19, v4 offset:3024
	v_fma_f16 v4, -v13, v7, v9
	v_fma_f16 v3, v12, v7, -v3
	v_fma_f16 v4, v14, v12, v4
	v_fma_f16 v3, v13, v14, v3
	v_pack_b32_f16 v3, v4, v3
	ds_write_b32 v2, v3 offset:9936
	ds_read_b32 v3, v19 offset:3456
	ds_read_b32 v4, v2 offset:9504
	global_load_dword v7, v[0:1], off offset:656
	s_waitcnt lgkmcnt(0)
	v_add_f16_e32 v9, v3, v4
	v_add_f16_sdwa v12, v4, v3 dst_sel:DWORD dst_unused:UNUSED_PAD src0_sel:WORD_1 src1_sel:WORD_1
	v_sub_f16_e32 v13, v3, v4
	v_sub_f16_sdwa v3, v3, v4 dst_sel:DWORD dst_unused:UNUSED_PAD src0_sel:WORD_1 src1_sel:WORD_1
	s_waitcnt vmcnt(3)
	v_lshrrev_b32_e32 v4, 16, v15
	v_fma_f16 v14, v13, v4, v9
	v_fma_f16 v16, v12, v4, v3
	v_fma_f16 v9, -v13, v4, v9
	v_fma_f16 v3, v12, v4, -v3
	v_fma_f16 v14, -v15, v12, v14
	v_fma_f16 v16, v13, v15, v16
	v_fma_f16 v9, v15, v12, v9
	;; [unrolled: 1-line block ×3, first 2 shown]
	v_pack_b32_f16 v14, v14, v16
	v_pack_b32_f16 v3, v9, v3
	ds_write_b32 v19, v14 offset:3456
	ds_write_b32 v2, v3 offset:9504
	ds_read_b32 v3, v19 offset:3888
	ds_read_b32 v4, v2 offset:9072
	global_load_dword v9, v[0:1], off offset:1088
	s_waitcnt lgkmcnt(0)
	v_add_f16_e32 v12, v3, v4
	v_add_f16_sdwa v13, v4, v3 dst_sel:DWORD dst_unused:UNUSED_PAD src0_sel:WORD_1 src1_sel:WORD_1
	v_sub_f16_e32 v14, v3, v4
	v_sub_f16_sdwa v3, v3, v4 dst_sel:DWORD dst_unused:UNUSED_PAD src0_sel:WORD_1 src1_sel:WORD_1
	global_load_dword v4, v[0:1], off offset:1520
	global_load_dword v15, v[0:1], off offset:1952
	s_waitcnt vmcnt(5)
	v_lshrrev_b32_e32 v0, 16, v5
	v_fma_f16 v1, v14, v0, v12
	v_fma_f16 v16, v13, v0, v3
	v_fma_f16 v1, -v5, v13, v1
	v_fma_f16 v16, v14, v5, v16
	v_pack_b32_f16 v1, v1, v16
	ds_write_b32 v19, v1 offset:3888
	v_fma_f16 v1, -v14, v0, v12
	v_fma_f16 v0, v13, v0, -v3
	v_fma_f16 v1, v5, v13, v1
	v_fma_f16 v0, v14, v5, v0
	v_pack_b32_f16 v0, v1, v0
	ds_write_b32 v2, v0 offset:9072
	ds_read_b32 v0, v19 offset:4320
	ds_read_b32 v1, v2 offset:8640
	s_waitcnt lgkmcnt(0)
	v_add_f16_e32 v3, v0, v1
	v_add_f16_sdwa v5, v1, v0 dst_sel:DWORD dst_unused:UNUSED_PAD src0_sel:WORD_1 src1_sel:WORD_1
	v_sub_f16_e32 v12, v0, v1
	v_sub_f16_sdwa v0, v0, v1 dst_sel:DWORD dst_unused:UNUSED_PAD src0_sel:WORD_1 src1_sel:WORD_1
	s_waitcnt vmcnt(4)
	v_lshrrev_b32_e32 v1, 16, v6
	v_fma_f16 v13, v12, v1, v3
	v_fma_f16 v14, v5, v1, v0
	v_fma_f16 v3, -v12, v1, v3
	v_fma_f16 v0, v5, v1, -v0
	v_fma_f16 v13, -v6, v5, v13
	v_fma_f16 v14, v12, v6, v14
	v_fma_f16 v3, v6, v5, v3
	v_fma_f16 v0, v12, v6, v0
	v_pack_b32_f16 v13, v13, v14
	v_pack_b32_f16 v0, v3, v0
	ds_write_b32 v19, v13 offset:4320
	ds_write_b32 v2, v0 offset:8640
	ds_read_b32 v0, v19 offset:4752
	ds_read_b32 v1, v2 offset:8208
	s_waitcnt lgkmcnt(0)
	v_add_f16_e32 v3, v0, v1
	v_add_f16_sdwa v5, v1, v0 dst_sel:DWORD dst_unused:UNUSED_PAD src0_sel:WORD_1 src1_sel:WORD_1
	v_sub_f16_e32 v6, v0, v1
	v_sub_f16_sdwa v0, v0, v1 dst_sel:DWORD dst_unused:UNUSED_PAD src0_sel:WORD_1 src1_sel:WORD_1
	s_waitcnt vmcnt(3)
	v_lshrrev_b32_e32 v1, 16, v7
	v_fma_f16 v12, v6, v1, v3
	v_fma_f16 v13, v5, v1, v0
	v_fma_f16 v3, -v6, v1, v3
	v_fma_f16 v0, v5, v1, -v0
	v_fma_f16 v12, -v7, v5, v12
	v_fma_f16 v13, v6, v7, v13
	v_fma_f16 v3, v7, v5, v3
	v_fma_f16 v0, v6, v7, v0
	v_pack_b32_f16 v12, v12, v13
	v_pack_b32_f16 v0, v3, v0
	ds_write_b32 v19, v12 offset:4752
	;; [unrolled: 21-line block ×4, first 2 shown]
	ds_write_b32 v2, v0 offset:7344
	ds_read_b32 v0, v19 offset:6048
	ds_read_b32 v1, v2 offset:6912
	v_add_u32_e32 v9, 0x2800, v19
	s_waitcnt lgkmcnt(0)
	v_add_f16_e32 v3, v0, v1
	v_add_f16_sdwa v4, v1, v0 dst_sel:DWORD dst_unused:UNUSED_PAD src0_sel:WORD_1 src1_sel:WORD_1
	v_sub_f16_e32 v5, v0, v1
	v_sub_f16_sdwa v0, v0, v1 dst_sel:DWORD dst_unused:UNUSED_PAD src0_sel:WORD_1 src1_sel:WORD_1
	s_waitcnt vmcnt(0)
	v_lshrrev_b32_e32 v1, 16, v15
	v_fma_f16 v6, v5, v1, v3
	v_fma_f16 v7, v4, v1, v0
	v_fma_f16 v3, -v5, v1, v3
	v_fma_f16 v0, v4, v1, -v0
	v_fma_f16 v6, -v15, v4, v6
	v_fma_f16 v7, v5, v15, v7
	v_fma_f16 v3, v15, v4, v3
	;; [unrolled: 1-line block ×3, first 2 shown]
	v_pack_b32_f16 v6, v6, v7
	v_pack_b32_f16 v0, v3, v0
	ds_write_b32 v19, v6 offset:6048
	ds_write_b32 v2, v0 offset:6912
	s_waitcnt lgkmcnt(0)
	s_barrier
	s_barrier
	ds_read2_b32 v[0:1], v19 offset1:108
	ds_read2_b32 v[2:3], v30 offset0:56 offset1:164
	ds_read2_b32 v[4:5], v28 offset0:112 offset1:220
	s_waitcnt lgkmcnt(1)
	v_pk_add_f16 v6, v1, v3
	s_waitcnt lgkmcnt(0)
	v_pk_add_f16 v7, v6, v5
	v_pk_add_f16 v6, v3, v5
	v_pk_fma_f16 v1, v6, 0.5, v1 op_sel_hi:[1,0,1] neg_lo:[1,0,0] neg_hi:[1,0,0]
	v_pk_add_f16 v3, v3, v5 neg_lo:[0,1] neg_hi:[0,1]
	ds_read2_b32 v[5:6], v27 offset0:88 offset1:196
	v_pk_mul_f16 v3, v3, s4 op_sel_hi:[1,0]
	v_pk_add_f16 v18, v1, v3 op_sel:[0,1] op_sel_hi:[1,0] neg_lo:[0,1] neg_hi:[0,1]
	v_pk_add_f16 v1, v1, v3 op_sel:[0,1] op_sel_hi:[1,0]
	v_mad_u32_u24 v3, v8, 12, 0
	v_add_u32_e32 v49, 0x510, v3
	v_bfi_b32 v50, s5, v18, v1
	ds_read2_b32 v[12:13], v26 offset0:16 offset1:124
	ds_read2_b32 v[14:15], v23 offset0:72 offset1:180
	;; [unrolled: 1-line block ×11, first 2 shown]
	s_waitcnt lgkmcnt(0)
	s_barrier
	ds_write2_b32 v49, v7, v50 offset1:1
	v_pk_add_f16 v7, v12, v14
	v_pk_add_f16 v49, v12, v14 neg_lo:[0,1] neg_hi:[0,1]
	v_pk_fma_f16 v7, v7, 0.5, v5 op_sel_hi:[1,0,1] neg_lo:[1,0,0] neg_hi:[1,0,0]
	v_pk_mul_f16 v49, v49, s4 op_sel_hi:[1,0]
	v_pk_add_f16 v50, v7, v49 op_sel:[0,1] op_sel_hi:[1,0] neg_lo:[0,1] neg_hi:[0,1]
	v_pk_add_f16 v7, v7, v49 op_sel:[0,1] op_sel_hi:[1,0]
	v_pk_add_f16 v5, v5, v12
	v_pk_add_f16 v5, v5, v14
	v_add_u32_e32 v12, 0xa20, v3
	v_bfi_b32 v14, s5, v50, v7
	ds_write2_b32 v12, v5, v14 offset1:1
	v_pk_add_f16 v5, v6, v13
	v_pk_add_f16 v12, v13, v15
	v_pk_add_f16 v13, v13, v15 neg_lo:[0,1] neg_hi:[0,1]
	v_pk_fma_f16 v6, v12, 0.5, v6 op_sel_hi:[1,0,1] neg_lo:[1,0,0] neg_hi:[1,0,0]
	v_pk_mul_f16 v12, v13, s4 op_sel_hi:[1,0]
	v_pk_add_f16 v13, v6, v12 op_sel:[0,1] op_sel_hi:[1,0] neg_lo:[0,1] neg_hi:[0,1]
	v_pk_add_f16 v6, v6, v12 op_sel:[0,1] op_sel_hi:[1,0]
	v_pk_add_f16 v5, v5, v15
	v_add_u32_e32 v12, 0xf30, v3
	v_bfi_b32 v14, s5, v13, v6
	ds_write2_b32 v12, v5, v14 offset1:1
	v_pk_add_f16 v5, v33, v35
	v_pk_add_f16 v12, v33, v35 neg_lo:[0,1] neg_hi:[0,1]
	v_pk_fma_f16 v5, v5, 0.5, v16 op_sel_hi:[1,0,1] neg_lo:[1,0,0] neg_hi:[1,0,0]
	v_pk_mul_f16 v12, v12, s4 op_sel_hi:[1,0]
	v_pk_add_f16 v14, v5, v12 op_sel:[0,1] op_sel_hi:[1,0] neg_lo:[0,1] neg_hi:[0,1]
	v_pk_add_f16 v5, v5, v12 op_sel:[0,1] op_sel_hi:[1,0]
	v_pk_add_f16 v12, v16, v33
	v_pk_add_f16 v12, v12, v35
	v_add_u32_e32 v15, 0x1440, v3
	v_bfi_b32 v16, s5, v14, v5
	ds_write2_b32 v15, v12, v16 offset1:1
	v_pk_add_f16 v12, v0, v2
	v_pk_add_f16 v15, v2, v4
	v_pk_add_f16 v2, v2, v4 neg_lo:[0,1] neg_hi:[0,1]
	v_pk_fma_f16 v0, v15, 0.5, v0 op_sel_hi:[1,0,1] neg_lo:[1,0,0] neg_hi:[1,0,0]
	v_pk_add_f16 v15, v34, v36
	v_pk_mul_f16 v2, v2, s4 op_sel_hi:[1,0]
	v_pk_add_f16 v4, v12, v4
	v_pk_add_f16 v12, v17, v34
	v_pk_fma_f16 v15, v15, 0.5, v17 op_sel_hi:[1,0,1] neg_lo:[1,0,0] neg_hi:[1,0,0]
	v_pk_add_f16 v17, v0, v2 op_sel:[0,1] op_sel_hi:[1,0] neg_lo:[0,1] neg_hi:[0,1]
	v_pk_add_f16 v0, v0, v2 op_sel:[0,1] op_sel_hi:[1,0]
	v_pk_add_f16 v16, v34, v36 neg_lo:[0,1] neg_hi:[0,1]
	v_bfi_b32 v2, s5, v17, v0
	ds_write2_b32 v3, v4, v2 offset1:1
	v_bfi_b32 v4, s5, v6, v13
	v_pk_mul_f16 v6, v16, s4 op_sel_hi:[1,0]
	v_bfi_b32 v0, s5, v0, v17
	v_bfi_b32 v2, s5, v7, v50
	v_pk_add_f16 v7, v15, v6 op_sel:[0,1] op_sel_hi:[1,0] neg_lo:[0,1] neg_hi:[0,1]
	v_pk_add_f16 v6, v15, v6 op_sel:[0,1] op_sel_hi:[1,0]
	v_pk_add_f16 v12, v12, v36
	v_bfi_b32 v1, s5, v1, v18
	v_bfi_b32 v5, s5, v5, v14
	;; [unrolled: 1-line block ×4, first 2 shown]
	ds_write_b32 v3, v0 offset:8
	ds_write_b32 v3, v1 offset:1304
	ds_write_b32 v3, v2 offset:2600
	ds_write_b32 v3, v4 offset:3896
	ds_write_b32 v3, v5 offset:5192
	ds_write_b32 v3, v12 offset:6480
	v_add_u32_e32 v0, 0x1954, v3
	ds_write2_b32 v0, v13, v6 offset1:1
	v_pk_add_f16 v0, v39, v41
	v_pk_add_f16 v1, v39, v41 neg_lo:[0,1] neg_hi:[0,1]
	v_pk_fma_f16 v0, v0, 0.5, v37 op_sel_hi:[1,0,1] neg_lo:[1,0,0] neg_hi:[1,0,0]
	v_pk_mul_f16 v1, v1, s4 op_sel_hi:[1,0]
	v_pk_add_f16 v2, v0, v1 op_sel:[0,1] op_sel_hi:[1,0] neg_lo:[0,1] neg_hi:[0,1]
	v_pk_add_f16 v0, v0, v1 op_sel:[0,1] op_sel_hi:[1,0]
	v_bfi_b32 v1, s5, v2, v0
	v_bfi_b32 v0, s5, v0, v2
	v_pk_add_f16 v2, v37, v39
	v_pk_add_f16 v2, v2, v41
	ds_write_b32 v3, v2 offset:7776
	v_add_u32_e32 v2, 0x1e64, v3
	ds_write2_b32 v2, v1, v0 offset1:1
	v_pk_add_f16 v1, v40, v42
	v_pk_add_f16 v2, v40, v42 neg_lo:[0,1] neg_hi:[0,1]
	v_pk_add_f16 v0, v38, v40
	v_pk_fma_f16 v1, v1, 0.5, v38 op_sel_hi:[1,0,1] neg_lo:[1,0,0] neg_hi:[1,0,0]
	v_pk_mul_f16 v2, v2, s4 op_sel_hi:[1,0]
	v_pk_add_f16 v0, v0, v42
	v_pk_add_f16 v4, v1, v2 op_sel:[0,1] op_sel_hi:[1,0] neg_lo:[0,1] neg_hi:[0,1]
	v_pk_add_f16 v1, v1, v2 op_sel:[0,1] op_sel_hi:[1,0]
	v_bfi_b32 v2, s5, v4, v1
	v_bfi_b32 v1, s5, v1, v4
	ds_write_b32 v3, v0 offset:9072
	v_add_u32_e32 v0, 0x2374, v3
	ds_write2_b32 v0, v2, v1 offset1:1
	v_pk_add_f16 v0, v45, v47
	v_pk_add_f16 v1, v45, v47 neg_lo:[0,1] neg_hi:[0,1]
	v_pk_fma_f16 v0, v0, 0.5, v43 op_sel_hi:[1,0,1] neg_lo:[1,0,0] neg_hi:[1,0,0]
	v_pk_mul_f16 v1, v1, s4 op_sel_hi:[1,0]
	v_pk_add_f16 v2, v0, v1 op_sel:[0,1] op_sel_hi:[1,0] neg_lo:[0,1] neg_hi:[0,1]
	v_pk_add_f16 v0, v0, v1 op_sel:[0,1] op_sel_hi:[1,0]
	v_bfi_b32 v1, s5, v2, v0
	v_bfi_b32 v0, s5, v0, v2
	v_pk_add_f16 v2, v43, v45
	v_pk_add_f16 v2, v2, v47
	ds_write_b32 v3, v2 offset:10368
	v_add_u32_e32 v2, 0x2884, v3
	ds_write2_b32 v2, v1, v0 offset1:1
	v_pk_add_f16 v0, v44, v46
	v_pk_add_f16 v1, v46, v48
	v_pk_add_f16 v2, v46, v48 neg_lo:[0,1] neg_hi:[0,1]
	v_pk_add_f16 v0, v0, v48
	v_pk_fma_f16 v1, v1, 0.5, v44 op_sel_hi:[1,0,1] neg_lo:[1,0,0] neg_hi:[1,0,0]
	v_pk_mul_f16 v2, v2, s4 op_sel_hi:[1,0]
	ds_write_b32 v3, v0 offset:11664
	v_add_u32_e32 v0, 0x2d94, v3
	v_pk_add_f16 v3, v1, v2 op_sel:[0,1] op_sel_hi:[1,0] neg_lo:[0,1] neg_hi:[0,1]
	v_pk_add_f16 v1, v1, v2 op_sel:[0,1] op_sel_hi:[1,0]
	v_bfi_b32 v2, s5, v3, v1
	v_bfi_b32 v1, s5, v1, v3
	s_movk_i32 s5, 0xab
	ds_write2_b32 v0, v2, v1 offset1:1
	v_mul_lo_u16_sdwa v0, v8, s5 dst_sel:DWORD dst_unused:UNUSED_PAD src0_sel:BYTE_0 src1_sel:DWORD
	v_lshrrev_b16_e32 v2, 9, v0
	v_mul_lo_u16_e32 v0, 3, v2
	v_sub_u16_e32 v3, v8, v0
	v_mov_b32_e32 v0, 3
	v_lshlrev_b32_sdwa v1, v0, v3 dst_sel:DWORD dst_unused:UNUSED_PAD src0_sel:DWORD src1_sel:BYTE_0
	v_add_u16_e32 v37, 0x6c, v8
	s_waitcnt lgkmcnt(0)
	s_barrier
	global_load_dwordx2 v[39:40], v1, s[8:9]
	v_mul_lo_u16_sdwa v1, v37, s5 dst_sel:DWORD dst_unused:UNUSED_PAD src0_sel:BYTE_0 src1_sel:DWORD
	v_lshrrev_b16_e32 v6, 9, v1
	v_mul_lo_u16_e32 v1, 3, v6
	v_sub_u16_e32 v7, v37, v1
	v_lshlrev_b32_sdwa v0, v0, v7 dst_sel:DWORD dst_unused:UNUSED_PAD src0_sel:DWORD src1_sel:BYTE_0
	global_load_dwordx2 v[41:42], v0, s[8:9]
	v_add_u32_e32 v36, 0xd8, v8
	s_mov_b32 s5, 0xaaab
	v_mul_u32_u24_sdwa v0, v36, s5 dst_sel:DWORD dst_unused:UNUSED_PAD src0_sel:WORD_0 src1_sel:DWORD
	v_lshrrev_b32_e32 v4, 17, v0
	v_mul_lo_u16_e32 v0, 3, v4
	v_sub_u16_e32 v5, v36, v0
	v_lshlrev_b32_e32 v0, 3, v5
	v_add_u32_e32 v35, 0x144, v8
	global_load_dwordx2 v[43:44], v0, s[8:9]
	v_mul_u32_u24_sdwa v0, v35, s5 dst_sel:DWORD dst_unused:UNUSED_PAD src0_sel:WORD_0 src1_sel:DWORD
	v_lshrrev_b32_e32 v0, 17, v0
	v_mul_lo_u16_e32 v1, 3, v0
	v_sub_u16_e32 v1, v35, v1
	v_lshlrev_b32_e32 v12, 3, v1
	global_load_dwordx2 v[45:46], v12, s[8:9]
	v_add_u32_e32 v34, 0x1b0, v8
	v_mul_u32_u24_sdwa v12, v34, s5 dst_sel:DWORD dst_unused:UNUSED_PAD src0_sel:WORD_0 src1_sel:DWORD
	v_lshrrev_b32_e32 v18, 17, v12
	v_mul_lo_u16_e32 v12, 3, v18
	v_add_u32_e32 v13, 0x21c, v8
	v_sub_u16_e32 v38, v34, v12
	v_mul_u32_u24_sdwa v14, v13, s5 dst_sel:DWORD dst_unused:UNUSED_PAD src0_sel:WORD_0 src1_sel:DWORD
	v_lshlrev_b32_e32 v12, 3, v38
	v_lshrrev_b32_e32 v16, 17, v14
	global_load_dwordx2 v[47:48], v12, s[8:9]
	v_mul_lo_u16_e32 v12, 3, v16
	v_sub_u16_e32 v17, v13, v12
	v_add_u32_e32 v13, 0x288, v8
	v_mul_u32_u24_sdwa v14, v13, s5 dst_sel:DWORD dst_unused:UNUSED_PAD src0_sel:WORD_0 src1_sel:DWORD
	v_lshrrev_b32_e32 v14, 17, v14
	v_mul_lo_u16_e32 v15, 3, v14
	v_lshlrev_b32_e32 v12, 3, v17
	v_sub_u16_e32 v15, v13, v15
	v_add_u32_e32 v13, 0x2f4, v8
	global_load_dwordx2 v[49:50], v12, s[8:9]
	v_mul_u32_u24_sdwa v12, v13, s5 dst_sel:DWORD dst_unused:UNUSED_PAD src0_sel:WORD_0 src1_sel:DWORD
	v_lshrrev_b32_e32 v12, 17, v12
	v_mul_lo_u16_e32 v53, 3, v12
	ds_read2_b32 v[51:52], v30 offset0:56 offset1:164
	v_sub_u16_e32 v13, v13, v53
	v_lshlrev_b32_e32 v33, 3, v15
	v_lshlrev_b32_e32 v57, 3, v13
	global_load_dwordx2 v[53:54], v33, s[8:9]
	global_load_dwordx2 v[55:56], v57, s[8:9]
	ds_read2_b32 v[57:58], v28 offset0:112 offset1:220
	s_waitcnt lgkmcnt(1)
	v_lshrrev_b32_e32 v33, 16, v51
	v_mul_u32_u24_e32 v2, 36, v2
	v_mul_u32_u24_e32 v6, 36, v6
	;; [unrolled: 1-line block ×3, first 2 shown]
	v_lshlrev_b32_e32 v5, 2, v5
	v_add3_u32 v4, 0, v4, v5
	v_mul_u32_u24_e32 v0, 36, v0
	v_lshlrev_b32_e32 v1, 2, v1
	v_add3_u32 v0, 0, v0, v1
	s_waitcnt vmcnt(7)
	v_mul_f16_sdwa v59, v39, v51 dst_sel:DWORD dst_unused:UNUSED_PAD src0_sel:WORD_1 src1_sel:DWORD
	v_fma_f16 v59, v39, v33, -v59
	v_mul_f16_sdwa v33, v39, v33 dst_sel:DWORD dst_unused:UNUSED_PAD src0_sel:WORD_1 src1_sel:DWORD
	v_fma_f16 v33, v39, v51, v33
	s_waitcnt lgkmcnt(0)
	v_lshrrev_b32_e32 v39, 16, v57
	v_mul_f16_sdwa v51, v57, v40 dst_sel:DWORD dst_unused:UNUSED_PAD src0_sel:DWORD src1_sel:WORD_1
	v_fma_f16 v60, v39, v40, -v51
	v_mul_f16_sdwa v39, v39, v40 dst_sel:DWORD dst_unused:UNUSED_PAD src0_sel:DWORD src1_sel:WORD_1
	v_fma_f16 v61, v57, v40, v39
	v_lshrrev_b32_e32 v39, 16, v52
	s_waitcnt vmcnt(6)
	v_mul_f16_sdwa v40, v39, v41 dst_sel:DWORD dst_unused:UNUSED_PAD src0_sel:DWORD src1_sel:WORD_1
	v_add_u32_e32 v51, 0x360, v8
	v_fma_f16 v62, v52, v41, v40
	v_mul_f16_sdwa v40, v52, v41 dst_sel:DWORD dst_unused:UNUSED_PAD src0_sel:DWORD src1_sel:WORD_1
	v_mul_u32_u24_sdwa v52, v51, s5 dst_sel:DWORD dst_unused:UNUSED_PAD src0_sel:WORD_0 src1_sel:DWORD
	v_lshrrev_b32_e32 v64, 17, v52
	v_fma_f16 v63, v39, v41, -v40
	v_lshrrev_b32_e32 v41, 16, v58
	v_mul_lo_u16_e32 v52, 3, v64
	v_sub_u16_e32 v65, v51, v52
	v_mul_f16_sdwa v57, v41, v42 dst_sel:DWORD dst_unused:UNUSED_PAD src0_sel:DWORD src1_sel:WORD_1
	v_lshlrev_b32_e32 v51, 3, v65
	v_fma_f16 v66, v58, v42, v57
	v_add_u32_e32 v57, 0x3cc, v8
	global_load_dwordx2 v[51:52], v51, s[8:9]
	v_mul_f16_sdwa v67, v58, v42 dst_sel:DWORD dst_unused:UNUSED_PAD src0_sel:DWORD src1_sel:WORD_1
	v_mul_u32_u24_sdwa v58, v57, s5 dst_sel:DWORD dst_unused:UNUSED_PAD src0_sel:WORD_0 src1_sel:DWORD
	v_lshrrev_b32_e32 v68, 17, v58
	v_mul_lo_u16_e32 v58, 3, v68
	v_sub_u16_e32 v69, v57, v58
	v_lshlrev_b32_e32 v57, 3, v69
	global_load_dwordx2 v[57:58], v57, s[8:9]
	ds_read2_b32 v[39:40], v26 offset0:16 offset1:124
	v_fma_f16 v67, v41, v42, -v67
	ds_read2_b32 v[41:42], v23 offset0:72 offset1:180
	v_sub_f16_e32 v90, v59, v60
	s_mov_b32 s5, 0xbaee
	s_waitcnt lgkmcnt(1)
	v_lshrrev_b32_e32 v70, 16, v39
	s_waitcnt vmcnt(7)
	v_mul_f16_sdwa v71, v39, v43 dst_sel:DWORD dst_unused:UNUSED_PAD src0_sel:DWORD src1_sel:WORD_1
	v_fma_f16 v71, v70, v43, -v71
	v_mul_f16_sdwa v70, v70, v43 dst_sel:DWORD dst_unused:UNUSED_PAD src0_sel:DWORD src1_sel:WORD_1
	v_fma_f16 v70, v39, v43, v70
	s_waitcnt lgkmcnt(0)
	v_lshrrev_b32_e32 v39, 16, v41
	v_mul_f16_sdwa v43, v41, v44 dst_sel:DWORD dst_unused:UNUSED_PAD src0_sel:DWORD src1_sel:WORD_1
	v_fma_f16 v72, v39, v44, -v43
	v_mul_f16_sdwa v39, v39, v44 dst_sel:DWORD dst_unused:UNUSED_PAD src0_sel:DWORD src1_sel:WORD_1
	v_fma_f16 v73, v41, v44, v39
	v_lshrrev_b32_e32 v39, 16, v40
	s_waitcnt vmcnt(6)
	v_mul_f16_sdwa v41, v39, v45 dst_sel:DWORD dst_unused:UNUSED_PAD src0_sel:DWORD src1_sel:WORD_1
	v_fma_f16 v74, v40, v45, v41
	v_mul_f16_sdwa v40, v40, v45 dst_sel:DWORD dst_unused:UNUSED_PAD src0_sel:DWORD src1_sel:WORD_1
	v_lshrrev_b32_e32 v41, 16, v42
	v_fma_f16 v75, v39, v45, -v40
	ds_read2_b32 v[39:40], v20 offset0:104 offset1:212
	v_mul_f16_sdwa v43, v41, v46 dst_sel:DWORD dst_unused:UNUSED_PAD src0_sel:DWORD src1_sel:WORD_1
	v_fma_f16 v76, v42, v46, v43
	v_mul_f16_sdwa v42, v42, v46 dst_sel:DWORD dst_unused:UNUSED_PAD src0_sel:DWORD src1_sel:WORD_1
	v_fma_f16 v77, v41, v46, -v42
	ds_read2_b32 v[41:42], v9 offset0:32 offset1:140
	s_waitcnt lgkmcnt(1)
	v_lshrrev_b32_e32 v43, 16, v39
	s_waitcnt vmcnt(5)
	v_mul_f16_sdwa v44, v39, v47 dst_sel:DWORD dst_unused:UNUSED_PAD src0_sel:DWORD src1_sel:WORD_1
	v_fma_f16 v78, v43, v47, -v44
	v_mul_f16_sdwa v43, v43, v47 dst_sel:DWORD dst_unused:UNUSED_PAD src0_sel:DWORD src1_sel:WORD_1
	v_fma_f16 v47, v39, v47, v43
	s_waitcnt lgkmcnt(0)
	v_lshrrev_b32_e32 v39, 16, v41
	v_mul_f16_sdwa v43, v41, v48 dst_sel:DWORD dst_unused:UNUSED_PAD src0_sel:DWORD src1_sel:WORD_1
	v_fma_f16 v79, v39, v48, -v43
	v_mul_f16_sdwa v39, v39, v48 dst_sel:DWORD dst_unused:UNUSED_PAD src0_sel:DWORD src1_sel:WORD_1
	v_fma_f16 v48, v41, v48, v39
	v_lshrrev_b32_e32 v39, 16, v40
	s_waitcnt vmcnt(4)
	v_mul_f16_sdwa v41, v39, v49 dst_sel:DWORD dst_unused:UNUSED_PAD src0_sel:DWORD src1_sel:WORD_1
	v_fma_f16 v80, v40, v49, v41
	v_mul_f16_sdwa v40, v40, v49 dst_sel:DWORD dst_unused:UNUSED_PAD src0_sel:DWORD src1_sel:WORD_1
	v_lshrrev_b32_e32 v41, 16, v42
	v_fma_f16 v49, v39, v49, -v40
	ds_read2_b32 v[39:40], v31 offset0:64 offset1:172
	v_mul_f16_sdwa v43, v41, v50 dst_sel:DWORD dst_unused:UNUSED_PAD src0_sel:DWORD src1_sel:WORD_1
	v_fma_f16 v81, v42, v50, v43
	v_mul_f16_sdwa v42, v42, v50 dst_sel:DWORD dst_unused:UNUSED_PAD src0_sel:DWORD src1_sel:WORD_1
	v_fma_f16 v50, v41, v50, -v42
	ds_read2_b32 v[41:42], v29 offset0:120 offset1:228
	s_waitcnt lgkmcnt(1)
	v_lshrrev_b32_e32 v43, 16, v39
	s_waitcnt vmcnt(3)
	v_mul_f16_sdwa v44, v39, v53 dst_sel:DWORD dst_unused:UNUSED_PAD src0_sel:DWORD src1_sel:WORD_1
	v_fma_f16 v82, v43, v53, -v44
	v_mul_f16_sdwa v43, v43, v53 dst_sel:DWORD dst_unused:UNUSED_PAD src0_sel:DWORD src1_sel:WORD_1
	v_fma_f16 v53, v39, v53, v43
	s_waitcnt lgkmcnt(0)
	v_lshrrev_b32_e32 v39, 16, v41
	v_mul_f16_sdwa v43, v41, v54 dst_sel:DWORD dst_unused:UNUSED_PAD src0_sel:DWORD src1_sel:WORD_1
	v_fma_f16 v83, v39, v54, -v43
	v_mul_f16_sdwa v39, v39, v54 dst_sel:DWORD dst_unused:UNUSED_PAD src0_sel:DWORD src1_sel:WORD_1
	v_fma_f16 v54, v41, v54, v39
	v_lshrrev_b32_e32 v39, 16, v40
	s_waitcnt vmcnt(2)
	v_mul_f16_sdwa v41, v39, v55 dst_sel:DWORD dst_unused:UNUSED_PAD src0_sel:DWORD src1_sel:WORD_1
	v_fma_f16 v84, v40, v55, v41
	v_mul_f16_sdwa v40, v40, v55 dst_sel:DWORD dst_unused:UNUSED_PAD src0_sel:DWORD src1_sel:WORD_1
	v_lshrrev_b32_e32 v41, 16, v42
	v_fma_f16 v55, v39, v55, -v40
	ds_read2_b32 v[39:40], v24 offset0:24 offset1:132
	v_mul_f16_sdwa v43, v41, v56 dst_sel:DWORD dst_unused:UNUSED_PAD src0_sel:DWORD src1_sel:WORD_1
	v_fma_f16 v85, v42, v56, v43
	v_mul_f16_sdwa v42, v42, v56 dst_sel:DWORD dst_unused:UNUSED_PAD src0_sel:DWORD src1_sel:WORD_1
	v_fma_f16 v56, v41, v56, -v42
	ds_read2_b32 v[41:42], v22 offset0:80 offset1:188
	s_waitcnt lgkmcnt(1)
	v_lshrrev_b32_e32 v43, 16, v39
	s_waitcnt vmcnt(1)
	v_mul_f16_sdwa v44, v39, v51 dst_sel:DWORD dst_unused:UNUSED_PAD src0_sel:DWORD src1_sel:WORD_1
	v_fma_f16 v86, v43, v51, -v44
	v_mul_f16_sdwa v43, v43, v51 dst_sel:DWORD dst_unused:UNUSED_PAD src0_sel:DWORD src1_sel:WORD_1
	v_fma_f16 v51, v39, v51, v43
	s_waitcnt lgkmcnt(0)
	v_lshrrev_b32_e32 v39, 16, v41
	v_mul_f16_sdwa v43, v41, v52 dst_sel:DWORD dst_unused:UNUSED_PAD src0_sel:DWORD src1_sel:WORD_1
	v_fma_f16 v87, v39, v52, -v43
	v_mul_f16_sdwa v39, v39, v52 dst_sel:DWORD dst_unused:UNUSED_PAD src0_sel:DWORD src1_sel:WORD_1
	v_fma_f16 v52, v41, v52, v39
	v_lshrrev_b32_e32 v39, 16, v40
	s_waitcnt vmcnt(0)
	v_mul_f16_sdwa v41, v39, v57 dst_sel:DWORD dst_unused:UNUSED_PAD src0_sel:DWORD src1_sel:WORD_1
	v_fma_f16 v88, v40, v57, v41
	v_mul_f16_sdwa v40, v40, v57 dst_sel:DWORD dst_unused:UNUSED_PAD src0_sel:DWORD src1_sel:WORD_1
	v_fma_f16 v57, v39, v57, -v40
	ds_read2_b32 v[39:40], v19 offset1:108
	v_lshrrev_b32_e32 v41, 16, v42
	v_mul_f16_sdwa v43, v41, v58 dst_sel:DWORD dst_unused:UNUSED_PAD src0_sel:DWORD src1_sel:WORD_1
	v_fma_f16 v89, v42, v58, v43
	v_mul_f16_sdwa v42, v42, v58 dst_sel:DWORD dst_unused:UNUSED_PAD src0_sel:DWORD src1_sel:WORD_1
	v_fma_f16 v58, v41, v58, -v42
	s_waitcnt lgkmcnt(0)
	v_lshrrev_b32_e32 v41, 16, v39
	v_add_f16_e32 v42, v41, v59
	v_add_f16_e32 v43, v59, v60
	;; [unrolled: 1-line block ×3, first 2 shown]
	v_fma_f16 v59, v43, -0.5, v41
	v_add_f16_e32 v41, v39, v33
	v_add_f16_e32 v43, v33, v61
	v_sub_f16_e32 v60, v33, v61
	v_mov_b32_e32 v33, 2
	v_lshlrev_b32_sdwa v3, v33, v3 dst_sel:DWORD dst_unused:UNUSED_PAD src0_sel:DWORD src1_sel:BYTE_0
	v_fma_f16 v39, v43, -0.5, v39
	v_add_f16_e32 v41, v41, v61
	v_add3_u32 v61, 0, v2, v3
	v_fma_f16 v2, v90, s5, v39
	v_fma_f16 v3, v60, s4, v59
	;; [unrolled: 1-line block ×4, first 2 shown]
	v_pack_b32_f16 v39, v39, v59
	v_pack_b32_f16 v91, v41, v42
	;; [unrolled: 1-line block ×3, first 2 shown]
	ds_read2_b32 v[2:3], v27 offset0:88 offset1:196
	ds_read2_b32 v[41:42], v21 offset0:48 offset1:156
	;; [unrolled: 1-line block ×4, first 2 shown]
	s_waitcnt lgkmcnt(0)
	s_barrier
	ds_write_b32 v61, v39 offset:24
	v_add_f16_e32 v39, v62, v66
	v_lshrrev_b32_e32 v59, 16, v40
	ds_write2_b32 v61, v91, v92 offset1:3
	v_fma_f16 v39, v39, -0.5, v40
	v_add_f16_e32 v40, v40, v62
	v_add_f16_e32 v60, v59, v63
	v_sub_f16_e32 v61, v63, v67
	v_add_f16_e32 v63, v63, v67
	v_add_f16_e32 v60, v60, v67
	v_fma_f16 v59, v63, -0.5, v59
	v_add_f16_e32 v40, v40, v66
	v_sub_f16_e32 v62, v62, v66
	v_lshlrev_b32_sdwa v7, v33, v7 dst_sel:DWORD dst_unused:UNUSED_PAD src0_sel:DWORD src1_sel:BYTE_0
	v_add3_u32 v6, 0, v6, v7
	v_pack_b32_f16 v7, v40, v60
	v_fma_f16 v40, v61, s5, v39
	v_fma_f16 v60, v62, s4, v59
	v_pack_b32_f16 v40, v40, v60
	ds_write2_b32 v6, v7, v40 offset1:3
	v_fma_f16 v7, v61, s4, v39
	v_fma_f16 v39, v62, s5, v59
	v_pack_b32_f16 v7, v7, v39
	ds_write_b32 v6, v7 offset:24
	v_lshrrev_b32_e32 v6, 16, v2
	v_add_f16_e32 v40, v71, v72
	v_add_f16_e32 v7, v6, v71
	v_fma_f16 v6, v40, -0.5, v6
	v_add_f16_e32 v40, v2, v70
	v_add_f16_e32 v59, v70, v73
	;; [unrolled: 1-line block ×3, first 2 shown]
	v_sub_f16_e32 v39, v71, v72
	v_add_f16_e32 v40, v40, v73
	v_sub_f16_e32 v60, v70, v73
	v_fma_f16 v2, v59, -0.5, v2
	v_pack_b32_f16 v5, v40, v7
	v_fma_f16 v7, v39, s5, v2
	v_fma_f16 v40, v60, s4, v6
	v_pack_b32_f16 v7, v7, v40
	ds_write2_b32 v4, v5, v7 offset1:3
	v_fma_f16 v2, v39, s4, v2
	v_fma_f16 v5, v60, s5, v6
	v_pack_b32_f16 v2, v2, v5
	ds_write_b32 v4, v2 offset:24
	v_add_f16_e32 v2, v74, v76
	v_lshrrev_b32_e32 v4, 16, v3
	v_fma_f16 v2, v2, -0.5, v3
	v_add_f16_e32 v3, v3, v74
	v_add_f16_e32 v5, v4, v75
	;; [unrolled: 1-line block ×4, first 2 shown]
	v_sub_f16_e32 v6, v75, v77
	v_fma_f16 v4, v7, -0.5, v4
	v_add_f16_e32 v3, v3, v76
	v_sub_f16_e32 v7, v74, v76
	v_pack_b32_f16 v1, v3, v5
	v_fma_f16 v3, v6, s5, v2
	v_fma_f16 v5, v7, s4, v4
	v_pack_b32_f16 v3, v3, v5
	ds_write2_b32 v0, v1, v3 offset1:3
	v_fma_f16 v1, v6, s4, v2
	v_fma_f16 v2, v7, s5, v4
	v_pack_b32_f16 v1, v1, v2
	ds_write_b32 v0, v1 offset:24
	v_lshrrev_b32_e32 v0, 16, v41
	v_add_f16_e32 v3, v78, v79
	v_add_f16_e32 v1, v0, v78
	v_fma_f16 v0, v3, -0.5, v0
	v_add_f16_e32 v3, v41, v47
	v_add_f16_e32 v1, v1, v79
	;; [unrolled: 1-line block ×4, first 2 shown]
	v_sub_f16_e32 v2, v78, v79
	v_sub_f16_e32 v5, v47, v48
	v_mul_u32_u24_e32 v6, 36, v18
	v_lshlrev_b32_e32 v7, 2, v38
	v_pack_b32_f16 v1, v3, v1
	v_fma_f16 v3, v4, -0.5, v41
	v_add3_u32 v6, 0, v6, v7
	v_fma_f16 v4, v2, s5, v3
	v_fma_f16 v7, v5, s4, v0
	v_pack_b32_f16 v4, v4, v7
	ds_write2_b32 v6, v1, v4 offset1:3
	v_fma_f16 v1, v2, s4, v3
	v_fma_f16 v0, v5, s5, v0
	v_pack_b32_f16 v0, v1, v0
	v_lshrrev_b32_e32 v1, 16, v42
	ds_write_b32 v6, v0 offset:24
	v_add_f16_e32 v0, v80, v81
	v_add_f16_e32 v2, v42, v80
	;; [unrolled: 1-line block ×4, first 2 shown]
	v_fma_f16 v0, v0, -0.5, v42
	v_add_f16_e32 v3, v3, v50
	v_sub_f16_e32 v4, v49, v50
	v_fma_f16 v1, v5, -0.5, v1
	v_add_f16_e32 v2, v2, v81
	v_sub_f16_e32 v5, v80, v81
	v_mul_u32_u24_e32 v6, 36, v16
	v_lshlrev_b32_e32 v7, 2, v17
	v_add3_u32 v6, 0, v6, v7
	v_pack_b32_f16 v2, v2, v3
	v_fma_f16 v3, v4, s5, v0
	v_fma_f16 v7, v5, s4, v1
	;; [unrolled: 1-line block ×4, first 2 shown]
	v_pack_b32_f16 v3, v3, v7
	v_pack_b32_f16 v0, v0, v1
	ds_write2_b32 v6, v2, v3 offset1:3
	ds_write_b32 v6, v0 offset:24
	v_lshrrev_b32_e32 v0, 16, v43
	v_add_f16_e32 v3, v82, v83
	v_add_f16_e32 v1, v0, v82
	v_fma_f16 v0, v3, -0.5, v0
	v_add_f16_e32 v3, v43, v53
	v_add_f16_e32 v1, v1, v83
	;; [unrolled: 1-line block ×4, first 2 shown]
	v_sub_f16_e32 v2, v82, v83
	v_sub_f16_e32 v5, v53, v54
	v_mul_u32_u24_e32 v6, 36, v14
	v_lshlrev_b32_e32 v7, 2, v15
	v_pack_b32_f16 v1, v3, v1
	v_fma_f16 v3, v4, -0.5, v43
	v_add3_u32 v6, 0, v6, v7
	v_fma_f16 v4, v2, s5, v3
	v_fma_f16 v7, v5, s4, v0
	v_pack_b32_f16 v4, v4, v7
	ds_write2_b32 v6, v1, v4 offset1:3
	v_fma_f16 v1, v2, s4, v3
	v_fma_f16 v0, v5, s5, v0
	v_pack_b32_f16 v0, v1, v0
	v_lshrrev_b32_e32 v1, 16, v44
	ds_write_b32 v6, v0 offset:24
	v_add_f16_e32 v0, v84, v85
	v_add_f16_e32 v2, v44, v84
	;; [unrolled: 1-line block ×4, first 2 shown]
	v_fma_f16 v0, v0, -0.5, v44
	v_add_f16_e32 v3, v3, v56
	v_sub_f16_e32 v4, v55, v56
	v_fma_f16 v1, v5, -0.5, v1
	v_add_f16_e32 v2, v2, v85
	v_sub_f16_e32 v5, v84, v85
	v_mul_u32_u24_e32 v6, 36, v12
	v_lshlrev_b32_e32 v7, 2, v13
	v_add3_u32 v6, 0, v6, v7
	v_pack_b32_f16 v2, v2, v3
	v_fma_f16 v3, v4, s5, v0
	v_fma_f16 v7, v5, s4, v1
	;; [unrolled: 1-line block ×4, first 2 shown]
	v_pack_b32_f16 v3, v3, v7
	v_pack_b32_f16 v0, v0, v1
	ds_write2_b32 v6, v2, v3 offset1:3
	ds_write_b32 v6, v0 offset:24
	v_lshrrev_b32_e32 v0, 16, v45
	v_add_f16_e32 v3, v86, v87
	v_add_f16_e32 v1, v0, v86
	v_fma_f16 v0, v3, -0.5, v0
	v_add_f16_e32 v3, v45, v51
	v_add_f16_e32 v1, v1, v87
	v_add_f16_e32 v3, v3, v52
	v_add_f16_e32 v4, v51, v52
	v_sub_f16_e32 v2, v86, v87
	v_sub_f16_e32 v5, v51, v52
	v_mul_u32_u24_e32 v6, 36, v64
	v_lshlrev_b32_e32 v7, 2, v65
	v_pack_b32_f16 v1, v3, v1
	v_fma_f16 v3, v4, -0.5, v45
	v_add3_u32 v6, 0, v6, v7
	v_fma_f16 v4, v2, s5, v3
	v_fma_f16 v7, v5, s4, v0
	v_pack_b32_f16 v4, v4, v7
	ds_write2_b32 v6, v1, v4 offset1:3
	v_fma_f16 v1, v2, s4, v3
	v_fma_f16 v0, v5, s5, v0
	v_pack_b32_f16 v0, v1, v0
	ds_write_b32 v6, v0 offset:24
	v_add_f16_e32 v0, v88, v89
	v_fma_f16 v0, v0, -0.5, v46
	v_lshrrev_b32_e32 v1, 16, v46
	v_sub_f16_e32 v3, v57, v58
	v_add_f16_e32 v5, v57, v58
	v_fma_f16 v4, v3, s5, v0
	v_fma_f16 v0, v3, s4, v0
	v_add_f16_e32 v3, v1, v57
	v_fma_f16 v1, v5, -0.5, v1
	v_sub_f16_e32 v5, v88, v89
	v_fma_f16 v6, v5, s4, v1
	v_fma_f16 v1, v5, s5, v1
	v_mul_u32_u24_e32 v5, 36, v68
	v_lshlrev_b32_e32 v7, 2, v69
	v_add3_u32 v5, 0, v5, v7
	v_pack_b32_f16 v0, v0, v1
	ds_write_b32 v5, v0 offset:24
	v_mov_b32_e32 v0, 57
	v_mul_lo_u16_sdwa v1, v8, v0 dst_sel:DWORD dst_unused:UNUSED_PAD src0_sel:BYTE_0 src1_sel:DWORD
	v_add_f16_e32 v2, v46, v88
	v_lshrrev_b16_e32 v50, 9, v1
	v_add_f16_e32 v3, v3, v58
	v_add_f16_e32 v2, v2, v89
	v_mul_lo_u16_e32 v1, 9, v50
	v_pack_b32_f16 v2, v2, v3
	v_pack_b32_f16 v3, v4, v6
	v_sub_u16_e32 v51, v8, v1
	v_mov_b32_e32 v1, 9
	ds_write2_b32 v5, v2, v3 offset1:3
	v_mul_u32_u24_sdwa v2, v51, v1 dst_sel:DWORD dst_unused:UNUSED_PAD src0_sel:BYTE_0 src1_sel:DWORD
	v_lshlrev_b32_e32 v18, 2, v2
	s_waitcnt lgkmcnt(0)
	s_barrier
	global_load_dwordx4 v[2:5], v18, s[8:9] offset:24
	v_mul_lo_u16_sdwa v0, v37, v0 dst_sel:DWORD dst_unused:UNUSED_PAD src0_sel:BYTE_0 src1_sel:DWORD
	v_lshrrev_b16_e32 v40, 9, v0
	v_mul_lo_u16_e32 v0, 9, v40
	v_sub_u16_e32 v41, v37, v0
	v_mul_u32_u24_sdwa v0, v41, v1 dst_sel:DWORD dst_unused:UNUSED_PAD src0_sel:BYTE_0 src1_sel:DWORD
	v_lshlrev_b32_e32 v65, 2, v0
	global_load_dwordx4 v[14:17], v65, s[8:9] offset:24
	v_mul_u32_u24_sdwa v0, v36, s6 dst_sel:DWORD dst_unused:UNUSED_PAD src0_sel:WORD_0 src1_sel:DWORD
	v_lshrrev_b32_e32 v38, 19, v0
	v_mul_lo_u16_e32 v0, 9, v38
	v_sub_u16_e32 v39, v36, v0
	v_mul_u32_u24_e32 v0, 9, v39
	v_lshlrev_b32_e32 v59, 2, v0
	global_load_dwordx4 v[70:73], v59, s[8:9] offset:24
	global_load_dwordx4 v[76:79], v18, s[8:9] offset:40
	ds_read2_b32 v[12:13], v27 offset0:88 offset1:196
	ds_read2_b32 v[6:7], v32 offset0:136 offset1:244
	s_movk_i32 s6, 0x38b4
	v_mul_u32_u24_e32 v40, 0x168, v40
	v_lshlrev_b32_sdwa v41, v33, v41 dst_sel:DWORD dst_unused:UNUSED_PAD src0_sel:DWORD src1_sel:BYTE_0
	s_waitcnt lgkmcnt(1)
	v_lshrrev_b32_e32 v0, 16, v13
	v_add3_u32 v40, 0, v40, v41
	v_mul_u32_u24_e32 v38, 0x168, v38
	v_lshlrev_b32_e32 v39, 2, v39
	v_add3_u32 v38, 0, v38, v39
	s_waitcnt vmcnt(3)
	v_mul_f16_sdwa v1, v2, v13 dst_sel:DWORD dst_unused:UNUSED_PAD src0_sel:WORD_1 src1_sel:DWORD
	v_fma_f16 v52, v2, v0, -v1
	v_mul_f16_sdwa v0, v2, v0 dst_sel:DWORD dst_unused:UNUSED_PAD src0_sel:WORD_1 src1_sel:DWORD
	v_fma_f16 v53, v2, v13, v0
	s_waitcnt lgkmcnt(0)
	v_lshrrev_b32_e32 v0, 16, v6
	v_mul_f16_sdwa v1, v3, v6 dst_sel:DWORD dst_unused:UNUSED_PAD src0_sel:WORD_1 src1_sel:DWORD
	ds_read2_b32 v[44:45], v25 offset0:96 offset1:204
	ds_read_u16 v13, v19 offset:3890
	v_fma_f16 v56, v3, v0, -v1
	v_mul_f16_sdwa v0, v3, v0 dst_sel:DWORD dst_unused:UNUSED_PAD src0_sel:WORD_1 src1_sel:DWORD
	ds_read2_b32 v[42:43], v26 offset0:16 offset1:124
	v_fma_f16 v63, v3, v6, v0
	global_load_dwordx4 v[0:3], v65, s[8:9] offset:40
	s_waitcnt lgkmcnt(2)
	v_mul_f16_sdwa v6, v4, v45 dst_sel:DWORD dst_unused:UNUSED_PAD src0_sel:WORD_1 src1_sel:DWORD
	s_waitcnt lgkmcnt(1)
	v_fma_f16 v66, v13, v4, -v6
	v_mul_f16_sdwa v6, v13, v4 dst_sel:DWORD dst_unused:UNUSED_PAD src0_sel:DWORD src1_sel:WORD_1
	v_fma_f16 v67, v4, v45, v6
	s_waitcnt lgkmcnt(0)
	v_lshrrev_b32_e32 v4, 16, v42
	v_mul_f16_sdwa v6, v42, v5 dst_sel:DWORD dst_unused:UNUSED_PAD src0_sel:DWORD src1_sel:WORD_1
	v_fma_f16 v68, v4, v5, -v6
	v_mul_f16_sdwa v4, v4, v5 dst_sel:DWORD dst_unused:UNUSED_PAD src0_sel:DWORD src1_sel:WORD_1
	v_fma_f16 v69, v42, v5, v4
	v_lshrrev_b32_e32 v4, 16, v7
	s_waitcnt vmcnt(3)
	v_mul_f16_sdwa v5, v4, v15 dst_sel:DWORD dst_unused:UNUSED_PAD src0_sel:DWORD src1_sel:WORD_1
	v_fma_f16 v62, v7, v15, v5
	v_mul_f16_sdwa v5, v7, v15 dst_sel:DWORD dst_unused:UNUSED_PAD src0_sel:DWORD src1_sel:WORD_1
	v_fma_f16 v57, v4, v15, -v5
	v_lshrrev_b32_e32 v4, 16, v43
	v_mul_f16_sdwa v5, v4, v17 dst_sel:DWORD dst_unused:UNUSED_PAD src0_sel:DWORD src1_sel:WORD_1
	v_fma_f16 v64, v43, v17, v5
	v_mul_f16_sdwa v5, v43, v17 dst_sel:DWORD dst_unused:UNUSED_PAD src0_sel:DWORD src1_sel:WORD_1
	global_load_dword v75, v18, s[8:9] offset:56
	v_fma_f16 v60, v4, v17, -v5
	global_load_dwordx4 v[4:7], v59, s[8:9] offset:40
	ds_read2_b32 v[45:46], v21 offset0:48 offset1:156
	ds_read2_b32 v[17:18], v30 offset0:56 offset1:164
	global_load_dword v59, v59, s[8:9] offset:56
	s_waitcnt lgkmcnt(1)
	v_lshrrev_b32_e32 v13, 16, v45
	v_mul_f16_sdwa v15, v45, v14 dst_sel:DWORD dst_unused:UNUSED_PAD src0_sel:DWORD src1_sel:WORD_1
	v_fma_f16 v54, v13, v14, -v15
	v_mul_f16_sdwa v13, v13, v14 dst_sel:DWORD dst_unused:UNUSED_PAD src0_sel:DWORD src1_sel:WORD_1
	v_fma_f16 v58, v45, v14, v13
	s_waitcnt lgkmcnt(0)
	v_lshrrev_b32_e32 v13, 16, v17
	v_mul_f16_sdwa v14, v17, v16 dst_sel:DWORD dst_unused:UNUSED_PAD src0_sel:DWORD src1_sel:WORD_1
	v_fma_f16 v55, v13, v16, -v14
	v_mul_f16_sdwa v13, v13, v16 dst_sel:DWORD dst_unused:UNUSED_PAD src0_sel:DWORD src1_sel:WORD_1
	v_fma_f16 v61, v17, v16, v13
	v_lshrrev_b32_e32 v13, 16, v46
	s_waitcnt vmcnt(5)
	v_mul_f16_sdwa v14, v13, v70 dst_sel:DWORD dst_unused:UNUSED_PAD src0_sel:DWORD src1_sel:WORD_1
	v_fma_f16 v43, v46, v70, v14
	v_mul_f16_sdwa v14, v46, v70 dst_sel:DWORD dst_unused:UNUSED_PAD src0_sel:DWORD src1_sel:WORD_1
	v_fma_f16 v42, v13, v70, -v14
	v_lshrrev_b32_e32 v13, 16, v44
	v_mul_f16_sdwa v14, v13, v71 dst_sel:DWORD dst_unused:UNUSED_PAD src0_sel:DWORD src1_sel:WORD_1
	v_fma_f16 v47, v44, v71, v14
	v_mul_f16_sdwa v14, v44, v71 dst_sel:DWORD dst_unused:UNUSED_PAD src0_sel:DWORD src1_sel:WORD_1
	v_fma_f16 v46, v13, v71, -v14
	ds_read2_b32 v[13:14], v20 offset0:104 offset1:212
	v_lshrrev_b32_e32 v15, 16, v18
	v_mul_f16_sdwa v16, v15, v72 dst_sel:DWORD dst_unused:UNUSED_PAD src0_sel:DWORD src1_sel:WORD_1
	v_fma_f16 v45, v18, v72, v16
	v_mul_f16_sdwa v16, v18, v72 dst_sel:DWORD dst_unused:UNUSED_PAD src0_sel:DWORD src1_sel:WORD_1
	v_fma_f16 v44, v15, v72, -v16
	s_waitcnt lgkmcnt(0)
	v_lshrrev_b32_e32 v15, 16, v13
	v_mul_f16_sdwa v16, v13, v73 dst_sel:DWORD dst_unused:UNUSED_PAD src0_sel:DWORD src1_sel:WORD_1
	v_fma_f16 v48, v15, v73, -v16
	v_mul_f16_sdwa v15, v15, v73 dst_sel:DWORD dst_unused:UNUSED_PAD src0_sel:DWORD src1_sel:WORD_1
	v_fma_f16 v49, v13, v73, v15
	ds_read2_b32 v[15:16], v24 offset0:24 offset1:132
	v_lshrrev_b32_e32 v13, 16, v14
	s_waitcnt vmcnt(4)
	v_mul_f16_sdwa v17, v13, v76 dst_sel:DWORD dst_unused:UNUSED_PAD src0_sel:DWORD src1_sel:WORD_1
	v_fma_f16 v71, v14, v76, v17
	v_mul_f16_sdwa v14, v14, v76 dst_sel:DWORD dst_unused:UNUSED_PAD src0_sel:DWORD src1_sel:WORD_1
	v_fma_f16 v70, v13, v76, -v14
	s_waitcnt lgkmcnt(0)
	v_lshrrev_b32_e32 v17, 16, v15
	ds_read2_b32 v[13:14], v28 offset0:112 offset1:220
	v_mul_f16_sdwa v18, v15, v77 dst_sel:DWORD dst_unused:UNUSED_PAD src0_sel:DWORD src1_sel:WORD_1
	v_fma_f16 v72, v17, v77, -v18
	v_mul_f16_sdwa v17, v17, v77 dst_sel:DWORD dst_unused:UNUSED_PAD src0_sel:DWORD src1_sel:WORD_1
	v_fma_f16 v74, v15, v77, v17
	ds_read2_b32 v[17:18], v9 offset0:32 offset1:140
	s_waitcnt lgkmcnt(1)
	v_lshrrev_b32_e32 v73, 16, v14
	v_mul_f16_sdwa v15, v14, v78 dst_sel:DWORD dst_unused:UNUSED_PAD src0_sel:DWORD src1_sel:WORD_1
	v_fma_f16 v15, v73, v78, -v15
	v_mul_f16_sdwa v73, v73, v78 dst_sel:DWORD dst_unused:UNUSED_PAD src0_sel:DWORD src1_sel:WORD_1
	v_fma_f16 v14, v14, v78, v73
	s_waitcnt lgkmcnt(0)
	v_lshrrev_b32_e32 v76, 16, v17
	v_mul_f16_sdwa v73, v17, v79 dst_sel:DWORD dst_unused:UNUSED_PAD src0_sel:DWORD src1_sel:WORD_1
	v_fma_f16 v73, v76, v79, -v73
	v_mul_f16_sdwa v76, v76, v79 dst_sel:DWORD dst_unused:UNUSED_PAD src0_sel:DWORD src1_sel:WORD_1
	v_fma_f16 v17, v17, v79, v76
	v_lshrrev_b32_e32 v76, 16, v16
	s_waitcnt vmcnt(3)
	v_mul_f16_sdwa v77, v76, v1 dst_sel:DWORD dst_unused:UNUSED_PAD src0_sel:DWORD src1_sel:WORD_1
	v_fma_f16 v80, v16, v1, v77
	v_mul_f16_sdwa v16, v16, v1 dst_sel:DWORD dst_unused:UNUSED_PAD src0_sel:DWORD src1_sel:WORD_1
	v_fma_f16 v16, v76, v1, -v16
	v_lshrrev_b32_e32 v1, 16, v18
	ds_read2_b32 v[76:77], v31 offset0:64 offset1:172
	v_mul_f16_sdwa v78, v1, v3 dst_sel:DWORD dst_unused:UNUSED_PAD src0_sel:DWORD src1_sel:WORD_1
	v_fma_f16 v81, v18, v3, v78
	ds_read2_b32 v[78:79], v23 offset0:72 offset1:180
	v_mul_f16_sdwa v18, v18, v3 dst_sel:DWORD dst_unused:UNUSED_PAD src0_sel:DWORD src1_sel:WORD_1
	v_fma_f16 v18, v1, v3, -v18
	s_waitcnt lgkmcnt(1)
	v_lshrrev_b32_e32 v1, 16, v76
	v_mul_f16_sdwa v3, v76, v0 dst_sel:DWORD dst_unused:UNUSED_PAD src0_sel:DWORD src1_sel:WORD_1
	global_load_dword v65, v65, s[8:9] offset:56
	v_fma_f16 v82, v1, v0, -v3
	v_mul_f16_sdwa v1, v1, v0 dst_sel:DWORD dst_unused:UNUSED_PAD src0_sel:DWORD src1_sel:WORD_1
	v_fma_f16 v76, v76, v0, v1
	s_waitcnt lgkmcnt(0)
	v_lshrrev_b32_e32 v0, 16, v78
	v_mul_f16_sdwa v1, v78, v2 dst_sel:DWORD dst_unused:UNUSED_PAD src0_sel:DWORD src1_sel:WORD_1
	v_fma_f16 v83, v0, v2, -v1
	v_mul_f16_sdwa v0, v0, v2 dst_sel:DWORD dst_unused:UNUSED_PAD src0_sel:DWORD src1_sel:WORD_1
	v_fma_f16 v78, v78, v2, v0
	v_lshrrev_b32_e32 v0, 16, v77
	s_waitcnt vmcnt(2)
	v_mul_f16_sdwa v1, v0, v4 dst_sel:DWORD dst_unused:UNUSED_PAD src0_sel:DWORD src1_sel:WORD_1
	v_fma_f16 v84, v77, v4, v1
	v_mul_f16_sdwa v1, v77, v4 dst_sel:DWORD dst_unused:UNUSED_PAD src0_sel:DWORD src1_sel:WORD_1
	v_fma_f16 v4, v0, v4, -v1
	v_lshrrev_b32_e32 v0, 16, v13
	v_mul_f16_sdwa v1, v0, v5 dst_sel:DWORD dst_unused:UNUSED_PAD src0_sel:DWORD src1_sel:WORD_1
	v_fma_f16 v77, v13, v5, v1
	v_mul_f16_sdwa v1, v13, v5 dst_sel:DWORD dst_unused:UNUSED_PAD src0_sel:DWORD src1_sel:WORD_1
	v_fma_f16 v5, v0, v5, -v1
	ds_read2_b32 v[0:1], v29 offset0:120 offset1:228
	v_lshrrev_b32_e32 v2, 16, v79
	v_mul_f16_sdwa v3, v2, v6 dst_sel:DWORD dst_unused:UNUSED_PAD src0_sel:DWORD src1_sel:WORD_1
	v_fma_f16 v13, v79, v6, v3
	v_mul_f16_sdwa v3, v79, v6 dst_sel:DWORD dst_unused:UNUSED_PAD src0_sel:DWORD src1_sel:WORD_1
	v_fma_f16 v6, v2, v6, -v3
	s_waitcnt lgkmcnt(0)
	v_lshrrev_b32_e32 v2, 16, v0
	v_mul_f16_sdwa v3, v0, v7 dst_sel:DWORD dst_unused:UNUSED_PAD src0_sel:DWORD src1_sel:WORD_1
	v_fma_f16 v79, v2, v7, -v3
	v_mul_f16_sdwa v2, v2, v7 dst_sel:DWORD dst_unused:UNUSED_PAD src0_sel:DWORD src1_sel:WORD_1
	v_fma_f16 v7, v0, v7, v2
	v_lshrrev_b32_e32 v0, 16, v1
	v_mul_f16_sdwa v2, v0, v75 dst_sel:DWORD dst_unused:UNUSED_PAD src0_sel:DWORD src1_sel:WORD_1
	v_fma_f16 v85, v1, v75, v2
	v_mul_f16_sdwa v1, v1, v75 dst_sel:DWORD dst_unused:UNUSED_PAD src0_sel:DWORD src1_sel:WORD_1
	v_fma_f16 v75, v0, v75, -v1
	v_sub_f16_e32 v0, v63, v69
	v_sub_f16_e32 v1, v17, v74
	v_add_f16_e32 v86, v0, v1
	v_sub_f16_e32 v0, v56, v68
	v_sub_f16_e32 v1, v73, v72
	v_add_f16_e32 v87, v0, v1
	;; [unrolled: 3-line block ×4, first 2 shown]
	v_add_f16_e32 v0, v71, v14
	v_fma_f16 v90, v0, -0.5, v53
	v_sub_f16_e32 v91, v66, v75
	v_fma_f16 v0, v91, s7, v90
	v_sub_f16_e32 v92, v70, v15
	v_fma_f16 v0, v92, s10, v0
	v_fma_f16 v2, v88, s11, v0
	v_add_f16_e32 v0, v70, v15
	v_fma_f16 v93, v0, -0.5, v52
	v_sub_f16_e32 v94, v67, v85
	v_fma_f16 v0, v94, s12, v93
	v_sub_f16_e32 v95, v71, v14
	v_fma_f16 v0, v95, s6, v0
	v_fma_f16 v0, v89, s11, v0
	v_mul_f16_e32 v1, 0xb8b4, v0
	v_fma_f16 v96, v2, s13, v1
	v_mul_f16_e32 v3, 0x3a79, v0
	ds_read2_b32 v[0:1], v19 offset1:108
	v_fma_f16 v97, v2, s6, v3
	v_mul_u32_u24_e32 v2, 0x168, v50
	v_lshlrev_b32_sdwa v3, v33, v51 dst_sel:DWORD dst_unused:UNUSED_PAD src0_sel:DWORD src1_sel:BYTE_0
	v_add3_u32 v50, 0, v2, v3
	s_waitcnt lgkmcnt(0)
	v_add_f16_e32 v2, v0, v63
	v_add_f16_e32 v2, v2, v69
	;; [unrolled: 1-line block ×3, first 2 shown]
	v_lshrrev_b32_e32 v98, 16, v0
	v_add_f16_e32 v51, v2, v17
	v_add_f16_e32 v2, v98, v56
	;; [unrolled: 1-line block ×15, first 2 shown]
	v_pack_b32_f16 v102, v2, v3
	v_add_f16_e32 v2, v69, v74
	v_sub_f16_e32 v108, v63, v17
	v_sub_f16_e32 v109, v69, v74
	;; [unrolled: 1-line block ×3, first 2 shown]
	v_add_f16_e32 v63, v63, v17
	v_fma_f16 v103, v2, -0.5, v0
	v_sub_f16_e32 v105, v68, v72
	v_fma_f16 v0, v63, -0.5, v0
	v_sub_f16_e32 v104, v56, v73
	v_sub_f16_e32 v17, v74, v17
	v_fma_f16 v63, v105, s12, v0
	v_fma_f16 v0, v105, s7, v0
	;; [unrolled: 1-line block ×3, first 2 shown]
	v_add_f16_e32 v17, v69, v17
	v_fma_f16 v63, v104, s10, v63
	v_fma_f16 v0, v104, s6, v0
	;; [unrolled: 1-line block ×5, first 2 shown]
	v_add_f16_e32 v17, v56, v73
	v_fma_f16 v106, v86, s11, v2
	v_add_f16_e32 v2, v68, v72
	v_fma_f16 v17, v17, -0.5, v98
	v_sub_f16_e32 v56, v68, v56
	v_sub_f16_e32 v68, v72, v73
	v_add_f16_e32 v56, v56, v68
	v_fma_f16 v68, v109, s7, v17
	v_fma_f16 v17, v109, s12, v17
	v_fma_f16 v68, v108, s6, v68
	v_fma_f16 v17, v108, s10, v17
	v_fma_f16 v68, v56, s11, v68
	v_fma_f16 v17, v56, s11, v17
	v_add_f16_e32 v56, v67, v85
	v_fma_f16 v53, v56, -0.5, v53
	v_sub_f16_e32 v56, v71, v67
	v_sub_f16_e32 v14, v14, v85
	v_add_f16_e32 v14, v56, v14
	v_fma_f16 v56, v92, s12, v53
	v_fma_f16 v53, v92, s7, v53
	v_fma_f16 v56, v91, s10, v56
	v_fma_f16 v53, v91, s6, v53
	v_fma_f16 v56, v14, s11, v56
	v_fma_f16 v14, v14, s11, v53
	v_add_f16_e32 v53, v66, v75
	v_fma_f16 v52, v53, -0.5, v52
	v_sub_f16_e32 v53, v70, v66
	v_sub_f16_e32 v15, v15, v75
	v_add_f16_e32 v15, v53, v15
	v_fma_f16 v53, v95, s7, v52
	v_fma_f16 v53, v94, s6, v53
	v_fma_f16 v52, v95, s12, v52
	v_fma_f16 v53, v15, s11, v53
	v_fma_f16 v52, v94, s10, v52
	v_fma_f16 v107, v2, -0.5, v98
	v_fma_f16 v15, v15, s11, v52
	v_mul_f16_e32 v52, 0xbb9c, v53
	v_mul_f16_e32 v53, 0x34f2, v53
	v_fma_f16 v2, v108, s12, v107
	v_fma_f16 v52, v56, s11, v52
	;; [unrolled: 1-line block ×3, first 2 shown]
	v_mul_f16_e32 v56, 0xbb9c, v15
	v_mul_f16_e32 v15, 0xb4f2, v15
	v_fma_f16 v2, v109, s6, v2
	v_fma_f16 v56, v14, s14, v56
	;; [unrolled: 1-line block ×3, first 2 shown]
	v_add_f16_e32 v15, v63, v52
	v_add_f16_e32 v66, v68, v53
	v_fma_f16 v110, v87, s11, v2
	v_pack_b32_f16 v15, v15, v66
	v_add_f16_e32 v66, v0, v56
	v_add_f16_e32 v67, v17, v14
	v_fma_f16 v69, v94, s7, v93
	v_add_f16_e32 v2, v106, v96
	v_add_f16_e32 v3, v110, v97
	v_pack_b32_f16 v66, v66, v67
	v_fma_f16 v67, v91, s12, v90
	v_fma_f16 v69, v95, s10, v69
	v_pack_b32_f16 v111, v2, v3
	ds_read2_b32 v[2:3], v22 offset0:80 offset1:188
	s_waitcnt vmcnt(0) lgkmcnt(0)
	s_barrier
	ds_write2_b32 v50, v15, v66 offset0:18 offset1:27
	v_fma_f16 v15, v104, s12, v103
	v_fma_f16 v66, v108, s7, v107
	;; [unrolled: 1-line block ×7, first 2 shown]
	v_mul_f16_e32 v70, 0xb8b4, v69
	v_mul_f16_e32 v69, 0xba79, v69
	v_fma_f16 v15, v86, s11, v15
	v_fma_f16 v66, v87, s11, v66
	v_fma_f16 v70, v67, s15, v70
	v_fma_f16 v67, v67, s6, v69
	v_sub_f16_e32 v51, v51, v100
	v_sub_f16_e32 v69, v99, v101
	v_add_f16_e32 v71, v15, v70
	v_add_f16_e32 v72, v66, v67
	v_pack_b32_f16 v71, v71, v72
	v_pack_b32_f16 v51, v51, v69
	v_sub_f16_e32 v0, v0, v56
	v_sub_f16_e32 v15, v15, v70
	;; [unrolled: 1-line block ×4, first 2 shown]
	ds_write2_b32 v50, v71, v51 offset0:36 offset1:45
	v_sub_f16_e32 v51, v106, v96
	v_sub_f16_e32 v52, v63, v52
	;; [unrolled: 1-line block ×4, first 2 shown]
	v_pack_b32_f16 v0, v0, v14
	v_pack_b32_f16 v14, v15, v17
	v_pack_b32_f16 v51, v51, v63
	v_pack_b32_f16 v52, v52, v53
	ds_write2_b32 v50, v0, v14 offset0:72 offset1:81
	v_lshrrev_b32_e32 v0, 16, v2
	v_mul_f16_sdwa v14, v2, v65 dst_sel:DWORD dst_unused:UNUSED_PAD src0_sel:DWORD src1_sel:WORD_1
	ds_write2_b32 v50, v102, v111 offset1:9
	ds_write2_b32 v50, v51, v52 offset0:54 offset1:63
	v_fma_f16 v14, v0, v65, -v14
	v_mul_f16_sdwa v0, v0, v65 dst_sel:DWORD dst_unused:UNUSED_PAD src0_sel:DWORD src1_sel:WORD_1
	v_sub_f16_e32 v50, v62, v64
	v_sub_f16_e32 v51, v81, v80
	v_fma_f16 v0, v2, v65, v0
	v_add_f16_e32 v50, v50, v51
	v_sub_f16_e32 v51, v57, v60
	v_sub_f16_e32 v52, v18, v16
	v_add_f16_e32 v51, v51, v52
	v_sub_f16_e32 v52, v61, v76
	v_sub_f16_e32 v53, v0, v78
	;; [unrolled: 3-line block ×3, first 2 shown]
	v_add_f16_e32 v67, v82, v83
	v_add_f16_e32 v53, v53, v56
	;; [unrolled: 1-line block ×3, first 2 shown]
	v_fma_f16 v67, v67, -0.5, v54
	v_sub_f16_e32 v68, v61, v0
	v_fma_f16 v56, v56, -0.5, v58
	v_sub_f16_e32 v63, v55, v14
	v_fma_f16 v69, v68, s12, v67
	v_sub_f16_e32 v70, v76, v78
	v_fma_f16 v65, v63, s7, v56
	;; [unrolled: 2-line block ×3, first 2 shown]
	v_fma_f16 v65, v66, s10, v65
	v_fma_f16 v69, v53, s11, v69
	v_add_f16_e32 v2, v64, v80
	v_add_f16_e32 v15, v62, v81
	v_lshrrev_b32_e32 v17, 16, v1
	v_fma_f16 v65, v52, s11, v65
	v_mul_f16_e32 v71, 0xb8b4, v69
	v_mul_f16_e32 v69, 0x3a79, v69
	v_fma_f16 v2, v2, -0.5, v1
	v_fma_f16 v15, v15, -0.5, v1
	v_add_f16_e32 v1, v1, v62
	v_fma_f16 v71, v65, s13, v71
	v_fma_f16 v65, v65, s6, v69
	v_add_f16_e32 v41, v17, v57
	v_add_f16_e32 v69, v58, v61
	;; [unrolled: 1-line block ×17, first 2 shown]
	v_sub_f16_e32 v85, v60, v16
	v_sub_f16_e32 v87, v62, v81
	v_sub_f16_e32 v89, v64, v80
	v_sub_f16_e32 v62, v64, v62
	v_sub_f16_e32 v64, v80, v81
	v_pack_b32_f16 v73, v73, v74
	v_sub_f16_e32 v74, v57, v18
	v_add_f16_e32 v62, v62, v64
	v_fma_f16 v64, v85, s12, v15
	v_fma_f16 v15, v85, s7, v15
	;; [unrolled: 1-line block ×4, first 2 shown]
	v_add_f16_e32 v86, v60, v16
	v_fma_f16 v64, v62, s11, v64
	v_fma_f16 v15, v62, s11, v15
	v_add_f16_e32 v62, v57, v18
	v_fma_f16 v86, v86, -0.5, v17
	v_fma_f16 v17, v62, -0.5, v17
	v_sub_f16_e32 v57, v60, v57
	v_sub_f16_e32 v16, v16, v18
	v_fma_f16 v18, v89, s7, v17
	v_fma_f16 v17, v89, s12, v17
	v_add_f16_e32 v16, v57, v16
	v_fma_f16 v18, v87, s6, v18
	v_fma_f16 v17, v87, s10, v17
	;; [unrolled: 1-line block ×4, first 2 shown]
	v_add_f16_e32 v17, v61, v0
	v_fma_f16 v17, v17, -0.5, v58
	v_sub_f16_e32 v57, v76, v61
	v_sub_f16_e32 v0, v78, v0
	v_add_f16_e32 v0, v57, v0
	v_fma_f16 v57, v66, s12, v17
	v_fma_f16 v17, v66, s7, v17
	;; [unrolled: 1-line block ×6, first 2 shown]
	v_add_f16_e32 v17, v55, v14
	v_fma_f16 v17, v17, -0.5, v54
	v_sub_f16_e32 v54, v82, v55
	v_sub_f16_e32 v14, v83, v14
	v_add_f16_e32 v14, v54, v14
	v_fma_f16 v54, v70, s7, v17
	v_fma_f16 v54, v68, s6, v54
	;; [unrolled: 1-line block ×6, first 2 shown]
	v_mul_f16_e32 v17, 0xbb9c, v54
	v_mul_f16_e32 v54, 0x34f2, v54
	v_fma_f16 v17, v57, s11, v17
	v_fma_f16 v54, v57, s12, v54
	v_mul_f16_e32 v55, 0xbb9c, v14
	v_mul_f16_e32 v14, 0xb4f2, v14
	v_fma_f16 v55, v0, s14, v55
	v_fma_f16 v0, v0, s12, v14
	v_add_f16_e32 v14, v64, v17
	v_add_f16_e32 v57, v18, v54
	v_pack_b32_f16 v14, v14, v57
	v_add_f16_e32 v57, v15, v55
	v_add_f16_e32 v58, v16, v0
	v_pack_b32_f16 v57, v57, v58
	v_fma_f16 v88, v87, s12, v86
	ds_write2_b32 v40, v14, v57 offset0:18 offset1:27
	v_fma_f16 v14, v87, s7, v86
	v_fma_f16 v75, v74, s7, v2
	;; [unrolled: 1-line block ×17, first 2 shown]
	v_mul_f16_e32 v52, 0xb8b4, v51
	v_mul_f16_e32 v51, 0xba79, v51
	v_fma_f16 v52, v50, s15, v52
	v_fma_f16 v50, v50, s6, v51
	v_sub_f16_e32 v1, v1, v69
	v_sub_f16_e32 v41, v41, v72
	v_add_f16_e32 v51, v2, v52
	v_add_f16_e32 v53, v14, v50
	v_pack_b32_f16 v51, v51, v53
	v_pack_b32_f16 v1, v1, v41
	ds_write2_b32 v40, v51, v1 offset0:36 offset1:45
	v_sub_f16_e32 v1, v75, v71
	v_sub_f16_e32 v17, v64, v17
	;; [unrolled: 1-line block ×4, first 2 shown]
	v_pack_b32_f16 v1, v1, v41
	v_pack_b32_f16 v17, v17, v18
	ds_write2_b32 v40, v1, v17 offset0:54 offset1:63
	v_sub_f16_e32 v1, v15, v55
	v_sub_f16_e32 v2, v2, v52
	;; [unrolled: 1-line block ×4, first 2 shown]
	v_pack_b32_f16 v0, v1, v0
	v_pack_b32_f16 v1, v2, v14
	ds_write2_b32 v40, v0, v1 offset0:72 offset1:81
	v_lshrrev_b32_e32 v0, 16, v3
	v_mul_f16_sdwa v1, v0, v59 dst_sel:DWORD dst_unused:UNUSED_PAD src0_sel:DWORD src1_sel:WORD_1
	v_sub_f16_e32 v15, v47, v49
	v_sub_f16_e32 v16, v7, v77
	v_add_f16_e32 v90, v75, v71
	v_add_f16_e32 v91, v88, v65
	v_fma_f16 v1, v3, v59, v1
	v_mul_f16_sdwa v2, v3, v59 dst_sel:DWORD dst_unused:UNUSED_PAD src0_sel:DWORD src1_sel:WORD_1
	v_add_f16_e32 v15, v15, v16
	v_sub_f16_e32 v16, v46, v48
	v_sub_f16_e32 v17, v79, v5
	v_pack_b32_f16 v90, v90, v91
	v_fma_f16 v0, v0, v59, -v2
	v_add_f16_e32 v16, v16, v17
	v_sub_f16_e32 v17, v45, v84
	v_sub_f16_e32 v18, v1, v13
	ds_write2_b32 v40, v73, v90 offset1:9
	v_add_f16_e32 v17, v17, v18
	v_sub_f16_e32 v18, v44, v4
	v_sub_f16_e32 v40, v0, v6
	v_add_f16_e32 v52, v4, v6
	v_add_f16_e32 v18, v18, v40
	;; [unrolled: 1-line block ×3, first 2 shown]
	v_fma_f16 v52, v52, -0.5, v42
	v_sub_f16_e32 v53, v45, v1
	v_fma_f16 v40, v40, -0.5, v43
	v_sub_f16_e32 v41, v44, v0
	v_fma_f16 v54, v53, s12, v52
	v_sub_f16_e32 v55, v84, v13
	v_fma_f16 v50, v41, s7, v40
	;; [unrolled: 2-line block ×3, first 2 shown]
	v_fma_f16 v50, v51, s10, v50
	v_fma_f16 v54, v18, s11, v54
	v_add_f16_e32 v2, v49, v77
	v_add_f16_e32 v3, v47, v7
	v_lshrrev_b32_e32 v14, 16, v12
	v_fma_f16 v50, v17, s11, v50
	v_mul_f16_e32 v56, 0xb8b4, v54
	v_mul_f16_e32 v54, 0x3a79, v54
	v_fma_f16 v2, v2, -0.5, v12
	v_fma_f16 v3, v3, -0.5, v12
	v_add_f16_e32 v12, v12, v47
	v_fma_f16 v56, v50, s13, v56
	v_fma_f16 v50, v50, s6, v54
	v_add_f16_e32 v39, v14, v46
	v_add_f16_e32 v54, v43, v45
	;; [unrolled: 1-line block ×17, first 2 shown]
	v_sub_f16_e32 v61, v48, v5
	v_sub_f16_e32 v63, v47, v7
	;; [unrolled: 1-line block ×4, first 2 shown]
	v_pack_b32_f16 v58, v58, v59
	v_sub_f16_e32 v59, v46, v79
	v_add_f16_e32 v7, v47, v7
	v_fma_f16 v47, v61, s12, v3
	v_fma_f16 v3, v61, s7, v3
	;; [unrolled: 1-line block ×4, first 2 shown]
	v_add_f16_e32 v62, v48, v5
	v_fma_f16 v47, v7, s11, v47
	v_fma_f16 v3, v7, s11, v3
	v_add_f16_e32 v7, v46, v79
	v_fma_f16 v62, v62, -0.5, v14
	v_sub_f16_e32 v65, v49, v77
	v_fma_f16 v7, v7, -0.5, v14
	v_sub_f16_e32 v14, v48, v46
	v_sub_f16_e32 v5, v5, v79
	v_add_f16_e32 v5, v14, v5
	v_fma_f16 v14, v65, s7, v7
	v_fma_f16 v7, v65, s12, v7
	v_fma_f16 v14, v63, s6, v14
	v_fma_f16 v7, v63, s10, v7
	v_fma_f16 v14, v5, s11, v14
	v_fma_f16 v5, v5, s11, v7
	v_add_f16_e32 v7, v45, v1
	v_fma_f16 v7, v7, -0.5, v43
	v_sub_f16_e32 v43, v84, v45
	v_sub_f16_e32 v1, v13, v1
	v_fma_f16 v13, v51, s12, v7
	v_fma_f16 v7, v51, s7, v7
	v_add_f16_e32 v1, v43, v1
	v_fma_f16 v13, v41, s10, v13
	v_fma_f16 v7, v41, s6, v7
	;; [unrolled: 1-line block ×4, first 2 shown]
	v_add_f16_e32 v7, v44, v0
	v_fma_f16 v7, v7, -0.5, v42
	v_sub_f16_e32 v4, v4, v44
	v_sub_f16_e32 v0, v6, v0
	v_add_f16_e32 v0, v4, v0
	v_fma_f16 v4, v55, s7, v7
	v_fma_f16 v4, v53, s6, v4
	;; [unrolled: 1-line block ×6, first 2 shown]
	v_mul_f16_e32 v6, 0xbb9c, v4
	v_mul_f16_e32 v4, 0x34f2, v4
	v_fma_f16 v6, v13, s11, v6
	v_fma_f16 v4, v13, s12, v4
	v_mul_f16_e32 v7, 0xbb9c, v0
	v_mul_f16_e32 v0, 0xb4f2, v0
	v_fma_f16 v7, v1, s14, v7
	v_fma_f16 v0, v1, s12, v0
	v_add_f16_e32 v1, v47, v6
	v_add_f16_e32 v13, v14, v4
	v_pack_b32_f16 v1, v1, v13
	v_add_f16_e32 v13, v3, v7
	v_add_f16_e32 v42, v5, v0
	v_pack_b32_f16 v13, v13, v42
	v_fma_f16 v60, v59, s7, v2
	ds_write2_b32 v38, v1, v13 offset0:18 offset1:27
	v_fma_f16 v1, v59, s12, v2
	v_fma_f16 v60, v61, s10, v60
	;; [unrolled: 1-line block ×17, first 2 shown]
	v_mul_f16_e32 v16, 0xb8b4, v15
	v_mul_f16_e32 v15, 0xba79, v15
	v_fma_f16 v16, v13, s15, v16
	v_fma_f16 v13, v13, s6, v15
	v_sub_f16_e32 v12, v12, v54
	v_sub_f16_e32 v15, v39, v57
	v_add_f16_e32 v17, v1, v16
	v_add_f16_e32 v18, v2, v13
	v_pack_b32_f16 v17, v17, v18
	v_pack_b32_f16 v12, v12, v15
	v_sub_f16_e32 v3, v3, v7
	v_sub_f16_e32 v1, v1, v16
	;; [unrolled: 1-line block ×4, first 2 shown]
	v_add_f16_e32 v66, v60, v56
	v_add_f16_e32 v67, v64, v50
	ds_write2_b32 v38, v17, v12 offset0:36 offset1:45
	v_sub_f16_e32 v12, v60, v56
	v_sub_f16_e32 v6, v47, v6
	;; [unrolled: 1-line block ×4, first 2 shown]
	v_pack_b32_f16 v0, v3, v0
	v_pack_b32_f16 v1, v1, v2
	s_movk_i32 s6, 0x5a
	v_pack_b32_f16 v66, v66, v67
	v_pack_b32_f16 v12, v12, v15
	;; [unrolled: 1-line block ×3, first 2 shown]
	ds_write2_b32 v38, v0, v1 offset0:72 offset1:81
	v_add_u32_e32 v0, 0xffffffa6, v8
	v_cmp_gt_u32_e32 vcc, s6, v8
	ds_write2_b32 v38, v58, v66 offset1:9
	ds_write2_b32 v38, v12, v4 offset0:54 offset1:63
	v_cndmask_b32_e32 v38, v0, v8, vcc
	v_mul_i32_i24_e32 v12, 5, v38
	v_mov_b32_e32 v13, 0
	v_lshlrev_b64 v[0:1], 2, v[12:13]
	v_mov_b32_e32 v12, s9
	v_add_co_u32_e32 v49, vcc, s8, v0
	v_addc_co_u32_e32 v50, vcc, v12, v1, vcc
	s_waitcnt lgkmcnt(0)
	s_barrier
	global_load_dwordx4 v[41:44], v[49:50], off offset:348
	s_movk_i32 s6, 0xb7
	v_mul_lo_u16_sdwa v0, v37, s6 dst_sel:DWORD dst_unused:UNUSED_PAD src0_sel:BYTE_0 src1_sel:DWORD
	v_lshrrev_b16_e32 v18, 14, v0
	v_mul_lo_u16_e32 v0, 0x5a, v18
	v_sub_u16_e32 v37, v37, v0
	v_mov_b32_e32 v0, 5
	v_mul_u32_u24_sdwa v0, v37, v0 dst_sel:DWORD dst_unused:UNUSED_PAD src0_sel:BYTE_0 src1_sel:DWORD
	v_lshlrev_b32_e32 v39, 2, v0
	global_load_dwordx4 v[0:3], v39, s[8:9] offset:348
	s_movk_i32 s6, 0x2d83
	v_mul_u32_u24_sdwa v4, v36, s6 dst_sel:DWORD dst_unused:UNUSED_PAD src0_sel:WORD_0 src1_sel:DWORD
	v_lshrrev_b32_e32 v16, 20, v4
	v_mul_lo_u16_e32 v4, 0x5a, v16
	v_sub_u16_e32 v17, v36, v4
	v_mul_u32_u24_e32 v4, 5, v17
	v_lshlrev_b32_e32 v40, 2, v4
	global_load_dwordx4 v[4:7], v40, s[8:9] offset:348
	v_mul_u32_u24_sdwa v36, v35, s6 dst_sel:DWORD dst_unused:UNUSED_PAD src0_sel:WORD_0 src1_sel:DWORD
	v_lshrrev_b32_e32 v36, 20, v36
	v_mul_lo_u16_e32 v45, 0x5a, v36
	ds_read2_b32 v[14:15], v21 offset0:48 offset1:156
	v_sub_u16_e32 v35, v35, v45
	v_mul_u32_u24_e32 v45, 5, v35
	v_lshlrev_b32_e32 v56, 2, v45
	ds_read2_b32 v[52:53], v30 offset0:56 offset1:164
	global_load_dwordx4 v[45:48], v56, s[8:9] offset:348
	s_waitcnt lgkmcnt(1)
	v_lshrrev_b32_e32 v51, 16, v15
	global_load_dword v57, v[49:50], off offset:364
	ds_read2_b32 v[54:55], v20 offset0:104 offset1:212
	ds_read_u16 v61, v19 offset:6482
	global_load_dword v39, v39, s[8:9] offset:364
	v_lshlrev_b32_sdwa v33, v33, v37 dst_sel:DWORD dst_unused:UNUSED_PAD src0_sel:DWORD src1_sel:BYTE_0
	global_load_dword v40, v40, s[8:9] offset:364
	v_mul_u32_u24_e32 v18, 0x870, v18
	global_load_dword v56, v56, s[8:9] offset:364
	v_add3_u32 v18, 0, v18, v33
	v_mul_u32_u24_e32 v16, 0x870, v16
	v_lshlrev_b32_e32 v17, 2, v17
	v_add3_u32 v16, 0, v16, v17
	v_mul_u32_u24_e32 v36, 0x870, v36
	v_lshlrev_b32_e32 v35, 2, v35
	v_add3_u32 v35, 0, v36, v35
	s_waitcnt vmcnt(7)
	v_mul_f16_sdwa v49, v41, v15 dst_sel:DWORD dst_unused:UNUSED_PAD src0_sel:WORD_1 src1_sel:DWORD
	v_fma_f16 v58, v41, v51, -v49
	v_mul_f16_sdwa v49, v41, v51 dst_sel:DWORD dst_unused:UNUSED_PAD src0_sel:WORD_1 src1_sel:DWORD
	v_fma_f16 v59, v41, v15, v49
	s_waitcnt lgkmcnt(2)
	v_lshrrev_b32_e32 v15, 16, v52
	v_mul_f16_sdwa v41, v42, v52 dst_sel:DWORD dst_unused:UNUSED_PAD src0_sel:WORD_1 src1_sel:DWORD
	v_fma_f16 v60, v42, v15, -v41
	v_mul_f16_sdwa v15, v42, v15 dst_sel:DWORD dst_unused:UNUSED_PAD src0_sel:WORD_1 src1_sel:DWORD
	v_fma_f16 v62, v42, v52, v15
	v_mul_u32_u24_sdwa v15, v34, s6 dst_sel:DWORD dst_unused:UNUSED_PAD src0_sel:WORD_0 src1_sel:DWORD
	v_lshrrev_b32_e32 v15, 20, v15
	v_mul_lo_u16_e32 v49, 0x5a, v15
	v_sub_u16_e32 v34, v34, v49
	v_mul_u32_u24_e32 v49, 5, v34
	v_lshlrev_b32_e32 v64, 2, v49
	global_load_dwordx4 v[49:52], v64, s[8:9] offset:348
	ds_read2_b32 v[41:42], v28 offset0:112 offset1:220
	s_waitcnt lgkmcnt(2)
	v_mul_f16_sdwa v63, v43, v55 dst_sel:DWORD dst_unused:UNUSED_PAD src0_sel:WORD_1 src1_sel:DWORD
	s_waitcnt lgkmcnt(1)
	v_fma_f16 v63, v61, v43, -v63
	v_mul_f16_sdwa v61, v61, v43 dst_sel:DWORD dst_unused:UNUSED_PAD src0_sel:DWORD src1_sel:WORD_1
	v_fma_f16 v55, v43, v55, v61
	s_waitcnt lgkmcnt(0)
	v_lshrrev_b32_e32 v43, 16, v41
	v_mul_f16_sdwa v61, v41, v44 dst_sel:DWORD dst_unused:UNUSED_PAD src0_sel:DWORD src1_sel:WORD_1
	v_fma_f16 v61, v43, v44, -v61
	v_mul_f16_sdwa v43, v43, v44 dst_sel:DWORD dst_unused:UNUSED_PAD src0_sel:DWORD src1_sel:WORD_1
	v_fma_f16 v65, v41, v44, v43
	v_lshrrev_b32_e32 v41, 16, v53
	s_waitcnt vmcnt(7)
	v_mul_f16_sdwa v43, v41, v1 dst_sel:DWORD dst_unused:UNUSED_PAD src0_sel:DWORD src1_sel:WORD_1
	v_fma_f16 v66, v53, v1, v43
	v_mul_f16_sdwa v43, v53, v1 dst_sel:DWORD dst_unused:UNUSED_PAD src0_sel:DWORD src1_sel:WORD_1
	v_fma_f16 v53, v41, v1, -v43
	v_lshrrev_b32_e32 v1, 16, v42
	ds_read2_b32 v[43:44], v32 offset0:136 offset1:244
	v_mul_f16_sdwa v41, v1, v3 dst_sel:DWORD dst_unused:UNUSED_PAD src0_sel:DWORD src1_sel:WORD_1
	v_fma_f16 v67, v42, v3, v41
	v_mul_f16_sdwa v41, v42, v3 dst_sel:DWORD dst_unused:UNUSED_PAD src0_sel:DWORD src1_sel:WORD_1
	v_fma_f16 v68, v1, v3, -v41
	ds_read2_b32 v[41:42], v31 offset0:64 offset1:172
	s_waitcnt lgkmcnt(1)
	v_lshrrev_b32_e32 v1, 16, v43
	v_mul_f16_sdwa v3, v43, v0 dst_sel:DWORD dst_unused:UNUSED_PAD src0_sel:DWORD src1_sel:WORD_1
	v_fma_f16 v69, v1, v0, -v3
	v_mul_f16_sdwa v1, v1, v0 dst_sel:DWORD dst_unused:UNUSED_PAD src0_sel:DWORD src1_sel:WORD_1
	v_fma_f16 v43, v43, v0, v1
	s_waitcnt lgkmcnt(0)
	v_lshrrev_b32_e32 v0, 16, v41
	v_mul_f16_sdwa v1, v41, v2 dst_sel:DWORD dst_unused:UNUSED_PAD src0_sel:DWORD src1_sel:WORD_1
	v_fma_f16 v70, v0, v2, -v1
	v_mul_f16_sdwa v0, v0, v2 dst_sel:DWORD dst_unused:UNUSED_PAD src0_sel:DWORD src1_sel:WORD_1
	v_fma_f16 v41, v41, v2, v0
	v_lshrrev_b32_e32 v0, 16, v44
	s_waitcnt vmcnt(6)
	v_mul_f16_sdwa v1, v0, v4 dst_sel:DWORD dst_unused:UNUSED_PAD src0_sel:DWORD src1_sel:WORD_1
	v_fma_f16 v71, v44, v4, v1
	v_mul_f16_sdwa v1, v44, v4 dst_sel:DWORD dst_unused:UNUSED_PAD src0_sel:DWORD src1_sel:WORD_1
	v_lshrrev_b32_e32 v2, 16, v42
	v_fma_f16 v44, v0, v4, -v1
	ds_read2_b32 v[0:1], v26 offset0:16 offset1:124
	v_mul_f16_sdwa v3, v2, v6 dst_sel:DWORD dst_unused:UNUSED_PAD src0_sel:DWORD src1_sel:WORD_1
	v_fma_f16 v72, v42, v6, v3
	v_mul_f16_sdwa v3, v42, v6 dst_sel:DWORD dst_unused:UNUSED_PAD src0_sel:DWORD src1_sel:WORD_1
	v_fma_f16 v42, v2, v6, -v3
	ds_read2_b32 v[2:3], v23 offset0:72 offset1:180
	s_waitcnt lgkmcnt(1)
	v_lshrrev_b32_e32 v4, 16, v0
	v_mul_f16_sdwa v6, v0, v5 dst_sel:DWORD dst_unused:UNUSED_PAD src0_sel:DWORD src1_sel:WORD_1
	v_fma_f16 v73, v4, v5, -v6
	v_mul_f16_sdwa v4, v4, v5 dst_sel:DWORD dst_unused:UNUSED_PAD src0_sel:DWORD src1_sel:WORD_1
	v_fma_f16 v74, v0, v5, v4
	s_waitcnt lgkmcnt(0)
	v_lshrrev_b32_e32 v0, 16, v2
	v_mul_f16_sdwa v4, v2, v7 dst_sel:DWORD dst_unused:UNUSED_PAD src0_sel:DWORD src1_sel:WORD_1
	v_fma_f16 v75, v0, v7, -v4
	v_mul_f16_sdwa v0, v0, v7 dst_sel:DWORD dst_unused:UNUSED_PAD src0_sel:DWORD src1_sel:WORD_1
	v_fma_f16 v76, v2, v7, v0
	v_lshrrev_b32_e32 v0, 16, v1
	s_waitcnt vmcnt(5)
	v_mul_f16_sdwa v2, v0, v46 dst_sel:DWORD dst_unused:UNUSED_PAD src0_sel:DWORD src1_sel:WORD_1
	v_fma_f16 v77, v1, v46, v2
	v_mul_f16_sdwa v1, v1, v46 dst_sel:DWORD dst_unused:UNUSED_PAD src0_sel:DWORD src1_sel:WORD_1
	v_lshrrev_b32_e32 v2, 16, v3
	v_fma_f16 v46, v0, v46, -v1
	ds_read2_b32 v[0:1], v25 offset0:96 offset1:204
	v_mul_f16_sdwa v4, v2, v48 dst_sel:DWORD dst_unused:UNUSED_PAD src0_sel:DWORD src1_sel:WORD_1
	v_fma_f16 v78, v3, v48, v4
	v_mul_f16_sdwa v3, v3, v48 dst_sel:DWORD dst_unused:UNUSED_PAD src0_sel:DWORD src1_sel:WORD_1
	v_fma_f16 v48, v2, v48, -v3
	ds_read2_b32 v[2:3], v24 offset0:24 offset1:132
	s_waitcnt lgkmcnt(1)
	v_lshrrev_b32_e32 v4, 16, v0
	v_mul_f16_sdwa v5, v0, v45 dst_sel:DWORD dst_unused:UNUSED_PAD src0_sel:DWORD src1_sel:WORD_1
	v_fma_f16 v79, v4, v45, -v5
	v_mul_f16_sdwa v4, v4, v45 dst_sel:DWORD dst_unused:UNUSED_PAD src0_sel:DWORD src1_sel:WORD_1
	v_fma_f16 v45, v0, v45, v4
	s_waitcnt lgkmcnt(0)
	v_lshrrev_b32_e32 v0, 16, v2
	v_mul_f16_sdwa v4, v2, v47 dst_sel:DWORD dst_unused:UNUSED_PAD src0_sel:DWORD src1_sel:WORD_1
	v_fma_f16 v80, v0, v47, -v4
	v_mul_f16_sdwa v0, v0, v47 dst_sel:DWORD dst_unused:UNUSED_PAD src0_sel:DWORD src1_sel:WORD_1
	v_fma_f16 v47, v2, v47, v0
	v_lshrrev_b32_e32 v0, 16, v1
	global_load_dword v64, v64, s[8:9] offset:364
	v_sub_f16_e32 v84, v60, v61
	s_waitcnt vmcnt(1)
	v_mul_f16_sdwa v2, v0, v49 dst_sel:DWORD dst_unused:UNUSED_PAD src0_sel:DWORD src1_sel:WORD_1
	v_fma_f16 v81, v1, v49, v2
	v_mul_f16_sdwa v1, v1, v49 dst_sel:DWORD dst_unused:UNUSED_PAD src0_sel:DWORD src1_sel:WORD_1
	v_fma_f16 v49, v0, v49, -v1
	v_lshrrev_b32_e32 v0, 16, v54
	v_mul_f16_sdwa v1, v0, v50 dst_sel:DWORD dst_unused:UNUSED_PAD src0_sel:DWORD src1_sel:WORD_1
	v_fma_f16 v82, v54, v50, v1
	v_mul_f16_sdwa v1, v54, v50 dst_sel:DWORD dst_unused:UNUSED_PAD src0_sel:DWORD src1_sel:WORD_1
	v_fma_f16 v50, v0, v50, -v1
	ds_read2_b32 v[0:1], v9 offset0:32 offset1:140
	v_lshrrev_b32_e32 v2, 16, v3
	v_mul_f16_sdwa v4, v2, v51 dst_sel:DWORD dst_unused:UNUSED_PAD src0_sel:DWORD src1_sel:WORD_1
	v_fma_f16 v54, v3, v51, v4
	v_mul_f16_sdwa v3, v3, v51 dst_sel:DWORD dst_unused:UNUSED_PAD src0_sel:DWORD src1_sel:WORD_1
	v_fma_f16 v51, v2, v51, -v3
	s_waitcnt lgkmcnt(0)
	v_lshrrev_b32_e32 v2, 16, v0
	v_mul_f16_sdwa v3, v0, v52 dst_sel:DWORD dst_unused:UNUSED_PAD src0_sel:DWORD src1_sel:WORD_1
	v_fma_f16 v83, v2, v52, -v3
	v_mul_f16_sdwa v2, v2, v52 dst_sel:DWORD dst_unused:UNUSED_PAD src0_sel:DWORD src1_sel:WORD_1
	v_fma_f16 v52, v0, v52, v2
	ds_read2_b32 v[2:3], v19 offset1:108
	v_lshrrev_b32_e32 v0, 16, v1
	v_mul_f16_sdwa v4, v0, v57 dst_sel:DWORD dst_unused:UNUSED_PAD src0_sel:DWORD src1_sel:WORD_1
	v_fma_f16 v4, v1, v57, v4
	v_mul_f16_sdwa v1, v1, v57 dst_sel:DWORD dst_unused:UNUSED_PAD src0_sel:DWORD src1_sel:WORD_1
	v_fma_f16 v0, v0, v57, -v1
	s_waitcnt lgkmcnt(0)
	v_lshrrev_b32_e32 v1, 16, v2
	v_add_f16_e32 v5, v1, v60
	v_add_f16_e32 v57, v5, v61
	;; [unrolled: 1-line block ×3, first 2 shown]
	v_fma_f16 v60, v5, -0.5, v1
	v_add_f16_e32 v1, v2, v62
	v_add_f16_e32 v5, v58, v63
	;; [unrolled: 1-line block ×4, first 2 shown]
	v_sub_f16_e32 v62, v62, v65
	v_add_f16_e32 v65, v5, v0
	v_sub_f16_e32 v85, v63, v0
	v_add_f16_e32 v0, v63, v0
	v_fma_f16 v58, v0, -0.5, v58
	v_add_f16_e32 v0, v55, v4
	v_fma_f16 v63, v0, -0.5, v59
	v_add_f16_e32 v0, v59, v55
	v_sub_f16_e32 v55, v55, v4
	v_add_f16_e32 v59, v0, v4
	v_fma_f16 v4, v55, s5, v58
	v_fma_f16 v0, v85, s4, v63
	v_mul_f16_e32 v5, 0xbaee, v4
	v_mul_f16_e32 v4, -0.5, v4
	s_movk_i32 s6, 0x59
	v_fma_f16 v86, v0, -0.5, v5
	v_fma_f16 v87, v0, s4, v4
	v_mov_b32_e32 v0, 0x870
	v_cmp_lt_u32_e32 vcc, s6, v8
	v_fma_f16 v2, v1, -0.5, v2
	v_cndmask_b32_e32 v0, 0, v0, vcc
	v_lshlrev_b32_e32 v4, 2, v38
	v_fma_f16 v88, v84, s4, v2
	v_fma_f16 v89, v62, s5, v60
	v_add3_u32 v38, 0, v0, v4
	v_add_f16_e32 v0, v88, v86
	v_add_f16_e32 v1, v89, v87
	v_fma_f16 v55, v55, s4, v58
	v_pack_b32_f16 v90, v0, v1
	v_sub_f16_e32 v0, v61, v59
	v_fma_f16 v60, v62, s4, v60
	v_fma_f16 v62, v85, s5, v63
	v_add_f16_e32 v58, v61, v59
	v_mul_f16_e32 v59, 0xbaee, v55
	v_mul_f16_e32 v55, 0.5, v55
	v_sub_f16_e32 v1, v57, v65
	v_fma_f16 v2, v84, s5, v2
	v_add_f16_e32 v57, v57, v65
	v_fma_f16 v59, v62, 0.5, v59
	v_fma_f16 v55, v62, s4, v55
	v_pack_b32_f16 v57, v58, v57
	v_add_f16_e32 v58, v2, v59
	v_add_f16_e32 v61, v60, v55
	v_pack_b32_f16 v91, v0, v1
	ds_read2_b32 v[0:1], v29 offset0:120 offset1:228
	ds_read2_b32 v[4:5], v27 offset0:88 offset1:196
	;; [unrolled: 1-line block ×3, first 2 shown]
	v_pack_b32_f16 v58, v58, v61
	s_waitcnt vmcnt(0) lgkmcnt(0)
	s_barrier
	ds_write2_b32 v38, v57, v58 offset1:90
	v_sub_f16_e32 v2, v2, v59
	v_sub_f16_e32 v57, v88, v86
	v_sub_f16_e32 v55, v60, v55
	v_sub_f16_e32 v58, v89, v87
	v_add_u32_e32 v92, 0x200, v38
	v_pack_b32_f16 v2, v2, v55
	v_pack_b32_f16 v55, v57, v58
	v_add_u32_e32 v38, 0x400, v38
	ds_write2_b32 v38, v2, v55 offset0:104 offset1:194
	v_lshrrev_b32_e32 v2, 16, v0
	v_mul_f16_sdwa v38, v0, v39 dst_sel:DWORD dst_unused:UNUSED_PAD src0_sel:DWORD src1_sel:WORD_1
	v_fma_f16 v38, v2, v39, -v38
	v_mul_f16_sdwa v2, v2, v39 dst_sel:DWORD dst_unused:UNUSED_PAD src0_sel:DWORD src1_sel:WORD_1
	v_fma_f16 v0, v0, v39, v2
	v_add_f16_e32 v58, v69, v70
	v_add_f16_e32 v60, v41, v0
	;; [unrolled: 1-line block ×3, first 2 shown]
	v_sub_f16_e32 v59, v70, v38
	v_add_f16_e32 v38, v70, v38
	v_fma_f16 v60, v60, -0.5, v43
	v_add_f16_e32 v43, v43, v41
	v_lshrrev_b32_e32 v39, 16, v3
	v_fma_f16 v38, v38, -0.5, v69
	v_add_f16_e32 v43, v43, v0
	v_sub_f16_e32 v0, v41, v0
	v_add_f16_e32 v2, v66, v67
	v_add_f16_e32 v55, v39, v53
	v_sub_f16_e32 v57, v53, v68
	v_add_f16_e32 v53, v53, v68
	v_fma_f16 v61, v0, s5, v38
	v_fma_f16 v2, v2, -0.5, v3
	v_fma_f16 v39, v53, -0.5, v39
	v_sub_f16_e32 v53, v66, v67
	v_fma_f16 v41, v59, s4, v60
	v_mul_f16_e32 v62, 0xbaee, v61
	v_mul_f16_e32 v61, -0.5, v61
	v_add_f16_e32 v3, v3, v66
	v_fma_f16 v62, v41, -0.5, v62
	v_fma_f16 v41, v41, s4, v61
	v_fma_f16 v33, v57, s4, v2
	;; [unrolled: 1-line block ×3, first 2 shown]
	v_add_f16_e32 v3, v3, v67
	v_add_f16_e32 v61, v33, v62
	;; [unrolled: 1-line block ×3, first 2 shown]
	v_fma_f16 v0, v0, s4, v38
	v_add_f16_e32 v55, v55, v68
	v_pack_b32_f16 v61, v61, v63
	v_sub_f16_e32 v63, v3, v43
	v_fma_f16 v39, v53, s4, v39
	v_fma_f16 v53, v59, s5, v60
	v_add_f16_e32 v3, v3, v43
	v_mul_f16_e32 v43, 0xbaee, v0
	v_mul_f16_e32 v0, 0.5, v0
	v_fma_f16 v2, v57, s5, v2
	v_add_f16_e32 v38, v55, v58
	v_fma_f16 v43, v53, 0.5, v43
	v_fma_f16 v0, v53, s4, v0
	v_pack_b32_f16 v3, v3, v38
	v_add_f16_e32 v38, v2, v43
	v_add_f16_e32 v53, v39, v0
	v_pack_b32_f16 v38, v38, v53
	ds_write2_b32 v92, v90, v91 offset0:52 offset1:142
	ds_write2_b32 v18, v3, v38 offset1:90
	v_sub_f16_e32 v2, v2, v43
	v_sub_f16_e32 v3, v33, v62
	;; [unrolled: 1-line block ×4, first 2 shown]
	v_pack_b32_f16 v0, v2, v0
	v_pack_b32_f16 v2, v3, v33
	v_add_u32_e32 v3, 0x400, v18
	ds_write2_b32 v3, v0, v2 offset0:104 offset1:194
	v_lshrrev_b32_e32 v0, 16, v1
	v_mul_f16_sdwa v2, v0, v40 dst_sel:DWORD dst_unused:UNUSED_PAD src0_sel:DWORD src1_sel:WORD_1
	v_fma_f16 v2, v1, v40, v2
	v_mul_f16_sdwa v1, v1, v40 dst_sel:DWORD dst_unused:UNUSED_PAD src0_sel:DWORD src1_sel:WORD_1
	v_fma_f16 v0, v0, v40, -v1
	v_add_f16_e32 v39, v44, v42
	v_add_f16_e32 v39, v39, v0
	v_sub_f16_e32 v40, v42, v0
	v_add_f16_e32 v0, v42, v0
	v_add_f16_e32 v42, v71, v72
	v_fma_f16 v0, v0, -0.5, v44
	v_add_f16_e32 v41, v72, v2
	v_add_f16_e32 v42, v42, v2
	v_sub_f16_e32 v2, v72, v2
	v_sub_f16_e32 v65, v55, v58
	v_lshrrev_b32_e32 v1, 16, v4
	v_add_f16_e32 v33, v73, v75
	v_add_f16_e32 v37, v74, v76
	v_fma_f16 v41, v41, -0.5, v71
	v_fma_f16 v44, v2, s5, v0
	v_pack_b32_f16 v63, v63, v65
	v_add_u32_e32 v65, 0x200, v18
	v_add_f16_e32 v3, v1, v73
	v_sub_f16_e32 v18, v73, v75
	v_fma_f16 v1, v33, -0.5, v1
	v_add_f16_e32 v33, v4, v74
	v_sub_f16_e32 v38, v74, v76
	v_fma_f16 v43, v40, s4, v41
	v_mul_f16_e32 v53, 0xbaee, v44
	v_mul_f16_e32 v44, -0.5, v44
	v_fma_f16 v4, v37, -0.5, v4
	v_fma_f16 v53, v43, -0.5, v53
	v_fma_f16 v43, v43, s4, v44
	v_fma_f16 v17, v18, s4, v4
	;; [unrolled: 1-line block ×3, first 2 shown]
	v_add_f16_e32 v33, v33, v76
	v_add_f16_e32 v44, v17, v53
	;; [unrolled: 1-line block ×3, first 2 shown]
	v_fma_f16 v0, v2, s4, v0
	v_add_f16_e32 v3, v3, v75
	v_pack_b32_f16 v44, v44, v55
	v_sub_f16_e32 v55, v33, v42
	v_fma_f16 v4, v18, s5, v4
	v_fma_f16 v18, v40, s5, v41
	v_add_f16_e32 v2, v33, v42
	v_mul_f16_e32 v33, 0xbaee, v0
	v_mul_f16_e32 v0, 0.5, v0
	v_sub_f16_e32 v57, v3, v39
	v_fma_f16 v1, v38, s4, v1
	v_add_f16_e32 v3, v3, v39
	v_fma_f16 v33, v18, 0.5, v33
	v_fma_f16 v0, v18, s4, v0
	v_pack_b32_f16 v2, v2, v3
	v_add_f16_e32 v3, v4, v33
	v_add_f16_e32 v18, v1, v0
	v_pack_b32_f16 v3, v3, v18
	ds_write2_b32 v65, v61, v63 offset0:52 offset1:142
	ds_write2_b32 v16, v2, v3 offset1:90
	v_sub_f16_e32 v2, v4, v33
	v_sub_f16_e32 v3, v17, v53
	;; [unrolled: 1-line block ×4, first 2 shown]
	v_pack_b32_f16 v0, v2, v0
	v_pack_b32_f16 v1, v3, v1
	v_add_u32_e32 v2, 0x400, v16
	ds_write2_b32 v2, v0, v1 offset0:104 offset1:194
	v_lshrrev_b32_e32 v0, 16, v6
	v_mul_f16_sdwa v1, v6, v56 dst_sel:DWORD dst_unused:UNUSED_PAD src0_sel:DWORD src1_sel:WORD_1
	v_fma_f16 v1, v0, v56, -v1
	v_mul_f16_sdwa v0, v0, v56 dst_sel:DWORD dst_unused:UNUSED_PAD src0_sel:DWORD src1_sel:WORD_1
	v_add_f16_e32 v17, v79, v80
	v_fma_f16 v0, v6, v56, v0
	v_add_f16_e32 v17, v17, v1
	v_sub_f16_e32 v18, v80, v1
	v_add_f16_e32 v1, v80, v1
	v_add_f16_e32 v37, v45, v47
	v_fma_f16 v1, v1, -0.5, v79
	v_add_f16_e32 v33, v47, v0
	v_add_f16_e32 v37, v37, v0
	v_sub_f16_e32 v0, v47, v0
	v_pack_b32_f16 v55, v55, v57
	v_add_u32_e32 v57, 0x200, v16
	v_add_f16_e32 v2, v77, v78
	v_lshrrev_b32_e32 v3, 16, v5
	v_add_f16_e32 v16, v46, v48
	v_fma_f16 v33, v33, -0.5, v45
	v_fma_f16 v39, v0, s5, v1
	v_fma_f16 v2, v2, -0.5, v5
	v_add_f16_e32 v4, v5, v77
	v_add_f16_e32 v5, v3, v46
	v_sub_f16_e32 v6, v46, v48
	v_fma_f16 v3, v16, -0.5, v3
	v_sub_f16_e32 v16, v77, v78
	v_fma_f16 v38, v18, s4, v33
	v_mul_f16_e32 v40, 0xbaee, v39
	v_mul_f16_e32 v39, -0.5, v39
	v_fma_f16 v40, v38, -0.5, v40
	v_fma_f16 v38, v38, s4, v39
	v_fma_f16 v36, v6, s4, v2
	;; [unrolled: 1-line block ×3, first 2 shown]
	v_add_f16_e32 v5, v5, v48
	v_add_f16_e32 v4, v4, v78
	;; [unrolled: 1-line block ×4, first 2 shown]
	v_fma_f16 v0, v0, s4, v1
	v_pack_b32_f16 v41, v41, v42
	v_sub_f16_e32 v42, v4, v37
	v_sub_f16_e32 v43, v5, v17
	v_fma_f16 v2, v6, s5, v2
	v_fma_f16 v6, v18, s5, v33
	v_add_f16_e32 v1, v4, v37
	v_add_f16_e32 v4, v5, v17
	v_mul_f16_e32 v5, 0xbaee, v0
	v_mul_f16_e32 v0, 0.5, v0
	v_fma_f16 v3, v16, s4, v3
	v_fma_f16 v5, v6, 0.5, v5
	v_fma_f16 v0, v6, s4, v0
	v_pack_b32_f16 v1, v1, v4
	v_add_f16_e32 v4, v2, v5
	v_add_f16_e32 v6, v3, v0
	v_pack_b32_f16 v4, v4, v6
	ds_write2_b32 v57, v44, v55 offset0:52 offset1:142
	ds_write2_b32 v35, v1, v4 offset1:90
	v_sub_f16_e32 v1, v2, v5
	v_sub_f16_e32 v2, v36, v40
	;; [unrolled: 1-line block ×4, first 2 shown]
	v_pack_b32_f16 v0, v1, v0
	v_pack_b32_f16 v1, v2, v3
	v_add_u32_e32 v2, 0x400, v35
	ds_write2_b32 v2, v0, v1 offset0:104 offset1:194
	v_lshrrev_b32_e32 v0, 16, v7
	v_mul_f16_sdwa v2, v7, v64 dst_sel:DWORD dst_unused:UNUSED_PAD src0_sel:DWORD src1_sel:WORD_1
	v_mul_f16_sdwa v1, v0, v64 dst_sel:DWORD dst_unused:UNUSED_PAD src0_sel:DWORD src1_sel:WORD_1
	v_fma_f16 v0, v0, v64, -v2
	v_add_f16_e32 v2, v82, v52
	v_fma_f16 v2, v2, -0.5, v14
	v_lshrrev_b32_e32 v3, 16, v14
	v_add_f16_e32 v4, v14, v82
	v_add_f16_e32 v14, v49, v51
	v_fma_f16 v1, v7, v64, v1
	v_add_f16_e32 v14, v14, v0
	v_sub_f16_e32 v16, v51, v0
	v_add_f16_e32 v0, v51, v0
	v_add_f16_e32 v18, v81, v54
	v_fma_f16 v0, v0, -0.5, v49
	v_add_f16_e32 v17, v54, v1
	v_add_f16_e32 v18, v18, v1
	v_sub_f16_e32 v1, v54, v1
	v_pack_b32_f16 v42, v42, v43
	v_add_u32_e32 v43, 0x200, v35
	v_add_f16_e32 v5, v3, v50
	v_fma_f16 v17, v17, -0.5, v81
	v_fma_f16 v35, v1, s4, v0
	v_add_f16_e32 v5, v5, v83
	v_add_f16_e32 v4, v4, v52
	v_fma_f16 v33, v16, s5, v17
	v_mul_f16_e32 v36, 0xbaee, v35
	v_mul_f16_e32 v35, 0.5, v35
	v_mul_u32_u24_e32 v15, 0x870, v15
	v_lshlrev_b32_e32 v34, 2, v34
	v_sub_f16_e32 v6, v50, v83
	v_add_f16_e32 v7, v50, v83
	v_fma_f16 v36, v33, 0.5, v36
	v_fma_f16 v33, v33, s4, v35
	v_add3_u32 v15, 0, v15, v34
	v_add_f16_e32 v34, v4, v18
	v_add_f16_e32 v35, v5, v14
	v_fma_f16 v0, v1, s5, v0
	v_fma_f16 v3, v7, -0.5, v3
	v_sub_f16_e32 v7, v82, v52
	v_pack_b32_f16 v34, v34, v35
	v_fma_f16 v35, v6, s5, v2
	v_fma_f16 v2, v6, s4, v2
	;; [unrolled: 1-line block ×3, first 2 shown]
	v_mul_f16_e32 v1, 0xbaee, v0
	v_mul_f16_e32 v0, -0.5, v0
	v_fma_f16 v37, v7, s4, v3
	v_fma_f16 v3, v7, s5, v3
	v_fma_f16 v1, v6, -0.5, v1
	v_fma_f16 v0, v6, s4, v0
	v_sub_f16_e32 v4, v4, v18
	v_add_f16_e32 v7, v2, v1
	v_sub_f16_e32 v1, v2, v1
	v_sub_f16_e32 v2, v5, v14
	v_add_f16_e32 v14, v3, v0
	v_sub_f16_e32 v6, v35, v36
	v_sub_f16_e32 v5, v37, v33
	;; [unrolled: 1-line block ×3, first 2 shown]
	v_pack_b32_f16 v3, v7, v14
	v_pack_b32_f16 v2, v4, v2
	v_add_u32_e32 v4, 0x200, v15
	ds_write2_b32 v43, v41, v42 offset0:52 offset1:142
	ds_write2_b32 v4, v3, v2 offset0:52 offset1:142
	v_pack_b32_f16 v2, v6, v5
	v_pack_b32_f16 v0, v1, v0
	v_add_u32_e32 v1, 0x400, v15
	v_add_f16_e32 v38, v35, v36
	v_add_f16_e32 v39, v37, v33
	ds_write2_b32 v1, v2, v0 offset0:104 offset1:194
	v_mul_u32_u24_e32 v0, 5, v8
	v_pack_b32_f16 v38, v38, v39
	v_lshlrev_b32_e32 v18, 2, v0
	ds_write2_b32 v15, v34, v38 offset1:90
	s_waitcnt lgkmcnt(0)
	s_barrier
	global_load_dwordx4 v[2:5], v18, s[8:9] offset:2148
	global_load_dword v55, v18, s[8:9] offset:2164
	v_add_co_u32_e32 v0, vcc, s8, v18
	s_movk_i32 s6, 0x870
	v_addc_co_u32_e32 v1, vcc, 0, v12, vcc
	v_add_co_u32_e32 v6, vcc, s6, v0
	v_addc_co_u32_e32 v7, vcc, 0, v1, vcc
	global_load_dwordx4 v[14:17], v[6:7], off offset:2148
	global_load_dword v61, v[6:7], off offset:2164
	s_movk_i32 s6, 0x10e0
	v_add_co_u32_e32 v47, vcc, s6, v0
	v_addc_co_u32_e32 v48, vcc, 0, v1, vcc
	global_load_dwordx4 v[35:38], v[47:48], off offset:2148
	global_load_dword v69, v[47:48], off offset:2164
	s_movk_i32 s6, 0x1950
	v_add_co_u32_e32 v49, vcc, s6, v0
	v_addc_co_u32_e32 v50, vcc, 0, v1, vcc
	global_load_dwordx4 v[39:42], v[49:50], off offset:2148
	v_add_u32_e32 v57, 0x21c0, v18
	global_load_dwordx4 v[43:46], v57, s[8:9] offset:2148
	ds_read2_b32 v[0:1], v21 offset0:48 offset1:156
	ds_read2_b32 v[51:52], v30 offset0:56 offset1:164
	;; [unrolled: 1-line block ×4, first 2 shown]
	s_waitcnt lgkmcnt(3)
	v_lshrrev_b32_e32 v12, 16, v1
	s_waitcnt lgkmcnt(0)
	v_lshrrev_b32_e32 v7, 16, v47
	s_waitcnt vmcnt(7)
	v_mul_f16_sdwa v33, v2, v1 dst_sel:DWORD dst_unused:UNUSED_PAD src0_sel:WORD_1 src1_sel:DWORD
	v_fma_f16 v33, v2, v12, -v33
	v_mul_f16_sdwa v12, v2, v12 dst_sel:DWORD dst_unused:UNUSED_PAD src0_sel:WORD_1 src1_sel:DWORD
	v_fma_f16 v34, v2, v1, v12
	v_lshrrev_b32_e32 v1, 16, v51
	v_mul_f16_sdwa v2, v3, v51 dst_sel:DWORD dst_unused:UNUSED_PAD src0_sel:WORD_1 src1_sel:DWORD
	v_fma_f16 v56, v3, v1, -v2
	v_mul_f16_sdwa v1, v3, v1 dst_sel:DWORD dst_unused:UNUSED_PAD src0_sel:WORD_1 src1_sel:DWORD
	v_fma_f16 v51, v3, v51, v1
	ds_read2_b32 v[1:2], v28 offset0:112 offset1:220
	v_lshrrev_b32_e32 v3, 16, v54
	v_mul_f16_sdwa v12, v4, v54 dst_sel:DWORD dst_unused:UNUSED_PAD src0_sel:WORD_1 src1_sel:DWORD
	v_fma_f16 v58, v4, v3, -v12
	v_mul_f16_sdwa v3, v4, v3 dst_sel:DWORD dst_unused:UNUSED_PAD src0_sel:WORD_1 src1_sel:DWORD
	v_fma_f16 v54, v4, v54, v3
	s_waitcnt lgkmcnt(0)
	v_lshrrev_b32_e32 v3, 16, v1
	v_mul_f16_sdwa v4, v1, v5 dst_sel:DWORD dst_unused:UNUSED_PAD src0_sel:DWORD src1_sel:WORD_1
	v_fma_f16 v59, v3, v5, -v4
	v_mul_f16_sdwa v3, v3, v5 dst_sel:DWORD dst_unused:UNUSED_PAD src0_sel:DWORD src1_sel:WORD_1
	v_fma_f16 v60, v1, v5, v3
	v_lshrrev_b32_e32 v1, 16, v52
	s_waitcnt vmcnt(5)
	v_mul_f16_sdwa v3, v1, v15 dst_sel:DWORD dst_unused:UNUSED_PAD src0_sel:DWORD src1_sel:WORD_1
	v_fma_f16 v62, v52, v15, v3
	v_mul_f16_sdwa v3, v52, v15 dst_sel:DWORD dst_unused:UNUSED_PAD src0_sel:DWORD src1_sel:WORD_1
	v_fma_f16 v52, v1, v15, -v3
	v_lshrrev_b32_e32 v1, 16, v2
	ds_read2_b32 v[3:4], v32 offset0:136 offset1:244
	v_mul_f16_sdwa v5, v1, v17 dst_sel:DWORD dst_unused:UNUSED_PAD src0_sel:DWORD src1_sel:WORD_1
	v_fma_f16 v63, v2, v17, v5
	v_mul_f16_sdwa v2, v2, v17 dst_sel:DWORD dst_unused:UNUSED_PAD src0_sel:DWORD src1_sel:WORD_1
	v_fma_f16 v64, v1, v17, -v2
	ds_read2_b32 v[1:2], v31 offset0:64 offset1:172
	s_waitcnt lgkmcnt(1)
	v_lshrrev_b32_e32 v5, 16, v3
	v_mul_f16_sdwa v6, v3, v14 dst_sel:DWORD dst_unused:UNUSED_PAD src0_sel:DWORD src1_sel:WORD_1
	v_fma_f16 v65, v5, v14, -v6
	v_mul_f16_sdwa v5, v5, v14 dst_sel:DWORD dst_unused:UNUSED_PAD src0_sel:DWORD src1_sel:WORD_1
	v_fma_f16 v66, v3, v14, v5
	s_waitcnt lgkmcnt(0)
	v_lshrrev_b32_e32 v3, 16, v1
	v_mul_f16_sdwa v5, v1, v16 dst_sel:DWORD dst_unused:UNUSED_PAD src0_sel:DWORD src1_sel:WORD_1
	v_fma_f16 v67, v3, v16, -v5
	v_mul_f16_sdwa v3, v3, v16 dst_sel:DWORD dst_unused:UNUSED_PAD src0_sel:DWORD src1_sel:WORD_1
	v_fma_f16 v68, v1, v16, v3
	v_lshrrev_b32_e32 v1, 16, v4
	s_waitcnt vmcnt(3)
	v_mul_f16_sdwa v3, v1, v35 dst_sel:DWORD dst_unused:UNUSED_PAD src0_sel:DWORD src1_sel:WORD_1
	v_fma_f16 v15, v4, v35, v3
	v_mul_f16_sdwa v3, v4, v35 dst_sel:DWORD dst_unused:UNUSED_PAD src0_sel:DWORD src1_sel:WORD_1
	v_fma_f16 v16, v1, v35, -v3
	v_lshrrev_b32_e32 v1, 16, v2
	ds_read2_b32 v[3:4], v26 offset0:16 offset1:124
	v_mul_f16_sdwa v5, v1, v37 dst_sel:DWORD dst_unused:UNUSED_PAD src0_sel:DWORD src1_sel:WORD_1
	v_fma_f16 v17, v2, v37, v5
	ds_read2_b32 v[5:6], v23 offset0:72 offset1:180
	v_mul_f16_sdwa v2, v2, v37 dst_sel:DWORD dst_unused:UNUSED_PAD src0_sel:DWORD src1_sel:WORD_1
	v_fma_f16 v18, v1, v37, -v2
	s_waitcnt lgkmcnt(1)
	v_lshrrev_b32_e32 v1, 16, v3
	v_mul_f16_sdwa v2, v3, v36 dst_sel:DWORD dst_unused:UNUSED_PAD src0_sel:DWORD src1_sel:WORD_1
	global_load_dword v14, v[49:50], off offset:2164
	v_fma_f16 v35, v1, v36, -v2
	v_mul_f16_sdwa v1, v1, v36 dst_sel:DWORD dst_unused:UNUSED_PAD src0_sel:DWORD src1_sel:WORD_1
	v_fma_f16 v70, v3, v36, v1
	s_waitcnt lgkmcnt(0)
	v_lshrrev_b32_e32 v1, 16, v5
	v_mul_f16_sdwa v2, v5, v38 dst_sel:DWORD dst_unused:UNUSED_PAD src0_sel:DWORD src1_sel:WORD_1
	ds_read2_b32 v[36:37], v25 offset0:96 offset1:204
	v_fma_f16 v71, v1, v38, -v2
	v_mul_f16_sdwa v1, v1, v38 dst_sel:DWORD dst_unused:UNUSED_PAD src0_sel:DWORD src1_sel:WORD_1
	v_lshrrev_b32_e32 v2, 16, v4
	v_fma_f16 v72, v5, v38, v1
	s_waitcnt vmcnt(2)
	v_mul_f16_sdwa v1, v2, v40 dst_sel:DWORD dst_unused:UNUSED_PAD src0_sel:DWORD src1_sel:WORD_1
	v_fma_f16 v1, v4, v40, v1
	v_mul_f16_sdwa v3, v4, v40 dst_sel:DWORD dst_unused:UNUSED_PAD src0_sel:DWORD src1_sel:WORD_1
	v_lshrrev_b32_e32 v4, 16, v6
	v_fma_f16 v2, v2, v40, -v3
	v_mul_f16_sdwa v3, v4, v42 dst_sel:DWORD dst_unused:UNUSED_PAD src0_sel:DWORD src1_sel:WORD_1
	v_mul_f16_sdwa v5, v6, v42 dst_sel:DWORD dst_unused:UNUSED_PAD src0_sel:DWORD src1_sel:WORD_1
	v_fma_f16 v3, v6, v42, v3
	v_fma_f16 v5, v4, v42, -v5
	s_waitcnt lgkmcnt(0)
	v_lshrrev_b32_e32 v6, 16, v36
	v_mul_f16_sdwa v4, v36, v39 dst_sel:DWORD dst_unused:UNUSED_PAD src0_sel:DWORD src1_sel:WORD_1
	v_fma_f16 v4, v6, v39, -v4
	v_mul_f16_sdwa v6, v6, v39 dst_sel:DWORD dst_unused:UNUSED_PAD src0_sel:DWORD src1_sel:WORD_1
	v_mul_f16_sdwa v12, v47, v41 dst_sel:DWORD dst_unused:UNUSED_PAD src0_sel:DWORD src1_sel:WORD_1
	v_fma_f16 v6, v36, v39, v6
	v_fma_f16 v12, v7, v41, -v12
	v_mul_f16_sdwa v7, v7, v41 dst_sel:DWORD dst_unused:UNUSED_PAD src0_sel:DWORD src1_sel:WORD_1
	v_lshrrev_b32_e32 v36, 16, v37
	v_fma_f16 v7, v47, v41, v7
	global_load_dword v47, v57, s[8:9] offset:2164
	s_waitcnt vmcnt(2)
	v_mul_f16_sdwa v38, v36, v43 dst_sel:DWORD dst_unused:UNUSED_PAD src0_sel:DWORD src1_sel:WORD_1
	v_fma_f16 v49, v37, v43, v38
	v_mul_f16_sdwa v37, v37, v43 dst_sel:DWORD dst_unused:UNUSED_PAD src0_sel:DWORD src1_sel:WORD_1
	v_fma_f16 v50, v36, v43, -v37
	v_lshrrev_b32_e32 v36, 16, v53
	v_mul_f16_sdwa v37, v36, v44 dst_sel:DWORD dst_unused:UNUSED_PAD src0_sel:DWORD src1_sel:WORD_1
	v_fma_f16 v57, v53, v44, v37
	v_mul_f16_sdwa v37, v53, v44 dst_sel:DWORD dst_unused:UNUSED_PAD src0_sel:DWORD src1_sel:WORD_1
	v_fma_f16 v44, v36, v44, -v37
	ds_read2_b32 v[36:37], v9 offset0:32 offset1:140
	v_lshrrev_b32_e32 v38, 16, v48
	v_mul_f16_sdwa v39, v38, v45 dst_sel:DWORD dst_unused:UNUSED_PAD src0_sel:DWORD src1_sel:WORD_1
	v_fma_f16 v53, v48, v45, v39
	v_mul_f16_sdwa v39, v48, v45 dst_sel:DWORD dst_unused:UNUSED_PAD src0_sel:DWORD src1_sel:WORD_1
	v_fma_f16 v45, v38, v45, -v39
	s_waitcnt lgkmcnt(0)
	v_lshrrev_b32_e32 v38, 16, v36
	v_mul_f16_sdwa v39, v36, v46 dst_sel:DWORD dst_unused:UNUSED_PAD src0_sel:DWORD src1_sel:WORD_1
	v_fma_f16 v48, v38, v46, -v39
	v_mul_f16_sdwa v38, v38, v46 dst_sel:DWORD dst_unused:UNUSED_PAD src0_sel:DWORD src1_sel:WORD_1
	v_fma_f16 v46, v36, v46, v38
	v_lshrrev_b32_e32 v36, 16, v37
	ds_read2_b32 v[38:39], v29 offset0:120 offset1:228
	v_mul_f16_sdwa v40, v36, v55 dst_sel:DWORD dst_unused:UNUSED_PAD src0_sel:DWORD src1_sel:WORD_1
	v_fma_f16 v73, v37, v55, v40
	v_mul_f16_sdwa v37, v37, v55 dst_sel:DWORD dst_unused:UNUSED_PAD src0_sel:DWORD src1_sel:WORD_1
	v_fma_f16 v55, v36, v55, -v37
	ds_read2_b32 v[36:37], v19 offset1:108
	s_waitcnt lgkmcnt(1)
	v_lshrrev_b32_e32 v40, 16, v38
	v_mul_f16_sdwa v41, v38, v61 dst_sel:DWORD dst_unused:UNUSED_PAD src0_sel:DWORD src1_sel:WORD_1
	v_fma_f16 v74, v40, v61, -v41
	v_mul_f16_sdwa v40, v40, v61 dst_sel:DWORD dst_unused:UNUSED_PAD src0_sel:DWORD src1_sel:WORD_1
	v_fma_f16 v38, v38, v61, v40
	s_waitcnt lgkmcnt(0)
	v_add_f16_e32 v40, v36, v51
	v_lshrrev_b32_e32 v75, 16, v36
	v_add_f16_e32 v61, v40, v60
	v_add_f16_e32 v40, v75, v56
	;; [unrolled: 1-line block ×9, first 2 shown]
	v_pack_b32_f16 v79, v40, v41
	v_add_f16_e32 v40, v37, v62
	v_lshrrev_b32_e32 v81, 16, v37
	v_add_f16_e32 v80, v40, v63
	v_add_f16_e32 v40, v81, v52
	;; [unrolled: 1-line block ×9, first 2 shown]
	v_pack_b32_f16 v85, v40, v41
	ds_read2_b32 v[40:41], v27 offset0:88 offset1:196
	ds_read2_b32 v[42:43], v22 offset0:80 offset1:188
	s_waitcnt vmcnt(0) lgkmcnt(0)
	s_barrier
	ds_write2_b32 v19, v79, v85 offset1:108
	v_add_f16_e32 v19, v51, v60
	v_fma_f16 v19, v19, -0.5, v36
	v_add_f16_e32 v36, v62, v63
	v_fma_f16 v36, v36, -0.5, v37
	v_sub_f16_e32 v37, v56, v59
	v_add_f16_e32 v56, v56, v59
	v_add_f16_e32 v59, v54, v73
	v_fma_f16 v34, v59, -0.5, v34
	v_sub_f16_e32 v59, v58, v55
	v_add_f16_e32 v55, v58, v55
	v_fma_f16 v33, v55, -0.5, v33
	v_sub_f16_e32 v54, v54, v73
	v_sub_f16_e32 v62, v62, v63
	v_add_f16_e32 v63, v68, v38
	v_fma_f16 v58, v54, s5, v33
	v_fma_f16 v63, v63, -0.5, v66
	v_add_f16_e32 v66, v67, v74
	v_sub_f16_e32 v51, v51, v60
	v_fma_f16 v55, v59, s4, v34
	v_mul_f16_e32 v60, 0xbaee, v58
	v_mul_f16_e32 v58, -0.5, v58
	v_fma_f16 v65, v66, -0.5, v65
	v_sub_f16_e32 v38, v68, v38
	v_fma_f16 v60, v55, -0.5, v60
	v_fma_f16 v55, v55, s4, v58
	v_sub_f16_e32 v58, v52, v64
	v_add_f16_e32 v52, v52, v64
	v_sub_f16_e32 v64, v67, v74
	v_fma_f16 v67, v38, s5, v65
	v_fma_f16 v56, v56, -0.5, v75
	v_fma_f16 v66, v64, s4, v63
	v_mul_f16_e32 v68, 0xbaee, v67
	v_mul_f16_e32 v67, -0.5, v67
	v_fma_f16 v68, v66, -0.5, v68
	v_fma_f16 v66, v66, s4, v67
	v_fma_f16 v67, v37, s4, v19
	;; [unrolled: 1-line block ×3, first 2 shown]
	v_fma_f16 v52, v52, -0.5, v81
	v_add_f16_e32 v74, v67, v60
	v_add_f16_e32 v75, v73, v55
	v_pack_b32_f16 v74, v74, v75
	v_fma_f16 v75, v58, s4, v36
	v_fma_f16 v79, v62, s5, v52
	v_add_f16_e32 v81, v75, v68
	v_add_f16_e32 v85, v79, v66
	v_fma_f16 v33, v54, s4, v33
	v_pack_b32_f16 v81, v81, v85
	v_fma_f16 v19, v37, s5, v19
	v_fma_f16 v34, v59, s5, v34
	v_mul_f16_e32 v37, 0xbaee, v33
	v_mul_f16_e32 v33, 0.5, v33
	v_fma_f16 v38, v38, s4, v65
	ds_write2_b32 v30, v74, v81 offset0:56 offset1:164
	v_fma_f16 v30, v51, s4, v56
	v_fma_f16 v37, v34, 0.5, v37
	v_fma_f16 v33, v34, s4, v33
	v_fma_f16 v34, v58, s5, v36
	;; [unrolled: 1-line block ×4, first 2 shown]
	v_mul_f16_e32 v52, 0xbaee, v38
	v_mul_f16_e32 v38, 0.5, v38
	v_fma_f16 v52, v51, 0.5, v52
	v_fma_f16 v38, v51, s4, v38
	v_sub_f16_e32 v51, v19, v37
	v_sub_f16_e32 v54, v30, v33
	v_pack_b32_f16 v51, v51, v54
	v_sub_f16_e32 v54, v34, v52
	v_sub_f16_e32 v56, v36, v38
	v_pack_b32_f16 v54, v54, v56
	ds_write2_b32 v28, v51, v54 offset0:112 offset1:220
	v_lshrrev_b32_e32 v28, 16, v39
	v_mul_f16_sdwa v51, v28, v69 dst_sel:DWORD dst_unused:UNUSED_PAD src0_sel:DWORD src1_sel:WORD_1
	v_fma_f16 v51, v39, v69, v51
	v_mul_f16_sdwa v39, v39, v69 dst_sel:DWORD dst_unused:UNUSED_PAD src0_sel:DWORD src1_sel:WORD_1
	v_fma_f16 v28, v28, v69, -v39
	v_add_f16_e32 v39, v18, v28
	v_add_f16_e32 v36, v36, v38
	;; [unrolled: 1-line block ×3, first 2 shown]
	v_fma_f16 v39, v39, -0.5, v16
	v_sub_f16_e32 v56, v17, v51
	v_add_f16_e32 v34, v34, v52
	v_fma_f16 v38, v38, -0.5, v15
	v_sub_f16_e32 v52, v18, v28
	v_fma_f16 v58, v56, s4, v39
	v_fma_f16 v54, v52, s5, v38
	v_mul_f16_e32 v59, 0xbaee, v58
	v_mul_f16_e32 v58, 0.5, v58
	v_fma_f16 v59, v54, 0.5, v59
	v_fma_f16 v54, v54, s4, v58
	v_pack_b32_f16 v34, v34, v36
	v_add_f16_e32 v36, v70, v72
	v_lshrrev_b32_e32 v58, 16, v40
	v_add_f16_e32 v62, v35, v71
	v_fma_f16 v36, v36, -0.5, v40
	v_fma_f16 v62, v62, -0.5, v58
	v_sub_f16_e32 v63, v35, v71
	v_sub_f16_e32 v65, v70, v72
	v_fma_f16 v64, v63, s5, v36
	v_fma_f16 v69, v65, s4, v62
	v_add_f16_e32 v74, v64, v59
	v_add_f16_e32 v81, v69, v54
	v_pack_b32_f16 v74, v74, v81
	v_add_f16_e32 v40, v40, v70
	v_add_f16_e32 v35, v58, v35
	;; [unrolled: 1-line block ×4, first 2 shown]
	ds_write2_b32 v32, v34, v74 offset0:136 offset1:244
	v_sub_f16_e32 v32, v80, v83
	v_sub_f16_e32 v34, v82, v84
	v_add_f16_e32 v40, v40, v72
	v_add_f16_e32 v35, v35, v71
	;; [unrolled: 1-line block ×4, first 2 shown]
	v_pack_b32_f16 v17, v32, v34
	v_sub_f16_e32 v18, v40, v15
	v_sub_f16_e32 v28, v35, v16
	v_fma_f16 v34, v56, s5, v39
	v_pack_b32_f16 v18, v18, v28
	v_fma_f16 v28, v63, s4, v36
	v_fma_f16 v32, v52, s4, v38
	v_mul_f16_e32 v36, 0xbaee, v34
	v_mul_f16_e32 v34, -0.5, v34
	ds_write2_b32 v31, v17, v18 offset0:64 offset1:172
	v_sub_f16_e32 v17, v75, v68
	v_sub_f16_e32 v18, v79, v66
	v_fma_f16 v31, v65, s5, v62
	v_fma_f16 v36, v32, -0.5, v36
	v_fma_f16 v32, v32, s4, v34
	v_pack_b32_f16 v17, v17, v18
	v_sub_f16_e32 v18, v28, v36
	v_sub_f16_e32 v34, v31, v32
	v_pack_b32_f16 v18, v18, v34
	ds_write2_b32 v29, v17, v18 offset0:120 offset1:228
	v_lshrrev_b32_e32 v17, 16, v42
	v_mul_f16_sdwa v18, v42, v14 dst_sel:DWORD dst_unused:UNUSED_PAD src0_sel:DWORD src1_sel:WORD_1
	v_fma_f16 v18, v17, v14, -v18
	v_mul_f16_sdwa v17, v17, v14 dst_sel:DWORD dst_unused:UNUSED_PAD src0_sel:DWORD src1_sel:WORD_1
	v_fma_f16 v14, v42, v14, v17
	v_add_f16_e32 v15, v40, v15
	v_add_f16_e32 v16, v35, v16
	v_lshrrev_b32_e32 v17, 16, v41
	v_pack_b32_f16 v15, v15, v16
	v_add_f16_e32 v16, v41, v1
	v_add_f16_e32 v29, v17, v2
	;; [unrolled: 1-line block ×10, first 2 shown]
	v_pack_b32_f16 v38, v38, v39
	ds_write2_b32 v27, v15, v38 offset0:88 offset1:196
	v_add_f16_e32 v15, v1, v3
	v_sub_f16_e32 v1, v1, v3
	v_add_f16_e32 v3, v7, v14
	v_fma_f16 v3, v3, -0.5, v6
	v_add_f16_e32 v6, v12, v18
	v_fma_f16 v4, v6, -0.5, v4
	v_sub_f16_e32 v6, v7, v14
	v_add_f16_e32 v27, v28, v36
	v_add_f16_e32 v28, v31, v32
	v_sub_f16_e32 v31, v2, v5
	v_add_f16_e32 v2, v2, v5
	v_sub_f16_e32 v5, v12, v18
	v_fma_f16 v12, v6, s5, v4
	v_fma_f16 v15, v15, -0.5, v41
	v_fma_f16 v2, v2, -0.5, v17
	v_fma_f16 v7, v5, s4, v3
	v_mul_f16_e32 v14, 0xbaee, v12
	v_mul_f16_e32 v12, -0.5, v12
	v_fma_f16 v14, v7, -0.5, v14
	v_fma_f16 v7, v7, s4, v12
	v_fma_f16 v17, v31, s4, v15
	;; [unrolled: 1-line block ×6, first 2 shown]
	v_pack_b32_f16 v12, v27, v28
	v_add_f16_e32 v27, v17, v14
	v_add_f16_e32 v28, v18, v7
	v_mul_f16_e32 v4, 0xbaee, v3
	v_mul_f16_e32 v3, 0.5, v3
	v_pack_b32_f16 v27, v27, v28
	v_fma_f16 v15, v31, s5, v15
	v_fma_f16 v4, v2, 0.5, v4
	v_fma_f16 v2, v2, s4, v3
	ds_write2_b32 v26, v12, v27 offset0:16 offset1:124
	v_sub_f16_e32 v12, v64, v59
	v_sub_f16_e32 v26, v69, v54
	v_sub_f16_e32 v5, v15, v4
	v_sub_f16_e32 v6, v1, v2
	v_pack_b32_f16 v3, v12, v26
	v_pack_b32_f16 v5, v5, v6
	ds_write2_b32 v23, v3, v5 offset0:72 offset1:180
	v_lshrrev_b32_e32 v3, 16, v43
	v_add_f16_e32 v1, v1, v2
	v_sub_f16_e32 v2, v16, v34
	v_add_f16_e32 v16, v57, v46
	v_mul_f16_sdwa v5, v3, v47 dst_sel:DWORD dst_unused:UNUSED_PAD src0_sel:DWORD src1_sel:WORD_1
	v_add_f16_e32 v4, v15, v4
	v_sub_f16_e32 v14, v17, v14
	v_sub_f16_e32 v15, v29, v35
	;; [unrolled: 1-line block ×3, first 2 shown]
	v_fma_f16 v16, v16, -0.5, v0
	v_lshrrev_b32_e32 v17, 16, v0
	v_sub_f16_e32 v18, v44, v48
	v_add_f16_e32 v29, v44, v48
	v_fma_f16 v5, v43, v47, v5
	v_mul_f16_sdwa v6, v43, v47 dst_sel:DWORD dst_unused:UNUSED_PAD src0_sel:DWORD src1_sel:WORD_1
	v_fma_f16 v28, v18, s5, v16
	v_fma_f16 v16, v18, s4, v16
	v_add_f16_e32 v18, v17, v44
	v_fma_f16 v17, v29, -0.5, v17
	v_sub_f16_e32 v29, v57, v46
	v_fma_f16 v3, v3, v47, -v6
	v_add_f16_e32 v12, v30, v33
	v_fma_f16 v30, v29, s4, v17
	v_fma_f16 v17, v29, s5, v17
	v_add_f16_e32 v29, v53, v5
	v_fma_f16 v29, v29, -0.5, v49
	v_sub_f16_e32 v31, v45, v3
	v_fma_f16 v32, v31, s5, v29
	v_fma_f16 v29, v31, s4, v29
	v_add_f16_e32 v31, v50, v45
	v_add_f16_e32 v31, v31, v3
	;; [unrolled: 1-line block ×4, first 2 shown]
	v_fma_f16 v3, v3, -0.5, v50
	v_add_f16_e32 v33, v33, v5
	v_sub_f16_e32 v5, v53, v5
	v_fma_f16 v34, v5, s4, v3
	v_fma_f16 v3, v5, s5, v3
	v_mul_f16_e32 v5, 0xbaee, v34
	v_mul_f16_e32 v34, 0.5, v34
	v_add_f16_e32 v0, v0, v57
	v_fma_f16 v5, v32, 0.5, v5
	v_fma_f16 v32, v32, s4, v34
	v_mul_f16_e32 v34, 0xbaee, v3
	v_add_f16_e32 v18, v18, v48
	v_add_f16_e32 v0, v0, v46
	v_fma_f16 v34, v29, -0.5, v34
	v_mul_f16_e32 v3, -0.5, v3
	v_add_f16_e32 v6, v19, v37
	v_fma_f16 v3, v29, s4, v3
	v_add_f16_e32 v29, v0, v33
	v_sub_f16_e32 v0, v0, v33
	v_add_f16_e32 v33, v28, v5
	v_sub_f16_e32 v5, v28, v5
	;; [unrolled: 2-line block ×4, first 2 shown]
	v_sub_f16_e32 v23, v67, v60
	v_sub_f16_e32 v27, v73, v55
	v_add_f16_e32 v31, v30, v32
	v_sub_f16_e32 v30, v30, v32
	v_pack_b32_f16 v6, v6, v12
	v_pack_b32_f16 v1, v4, v1
	;; [unrolled: 1-line block ×6, first 2 shown]
	v_sub_f16_e32 v19, v61, v77
	v_sub_f16_e32 v26, v76, v78
	v_add_f16_e32 v32, v17, v3
	v_sub_f16_e32 v3, v17, v3
	v_pack_b32_f16 v17, v23, v27
	ds_write2_b32 v21, v7, v6 offset0:48 offset1:156
	v_pack_b32_f16 v6, v33, v31
	ds_write2_b32 v24, v2, v0 offset0:24 offset1:132
	v_pack_b32_f16 v0, v5, v30
	v_pack_b32_f16 v12, v19, v26
	ds_write2_b32 v25, v1, v6 offset0:96 offset1:204
	v_pack_b32_f16 v1, v28, v32
	ds_write2_b32 v9, v0, v17 offset0:32 offset1:140
	;; [unrolled: 2-line block ×3, first 2 shown]
	ds_write2_b32 v22, v4, v0 offset0:80 offset1:188
	s_waitcnt lgkmcnt(0)
	s_barrier
	s_and_saveexec_b64 s[4:5], s[0:1]
	s_cbranch_execz .LBB0_19
; %bb.18:
	v_lshl_add_u32 v4, v8, 2, 0
	v_mov_b32_e32 v9, v13
	ds_read2_b32 v[0:1], v4 offset1:108
	v_mov_b32_e32 v2, s3
	v_add_co_u32_e32 v5, vcc, s2, v10
	v_addc_co_u32_e32 v6, vcc, v2, v11, vcc
	v_lshlrev_b64 v[2:3], 2, v[8:9]
	v_add_u32_e32 v12, 0x6c, v8
	v_add_co_u32_e32 v2, vcc, v5, v2
	v_addc_co_u32_e32 v3, vcc, v6, v3, vcc
	s_waitcnt lgkmcnt(0)
	global_store_dword v[2:3], v0, off
	v_lshlrev_b64 v[2:3], 2, v[12:13]
	v_add_u32_e32 v0, 0x200, v4
	v_add_co_u32_e32 v2, vcc, v5, v2
	v_addc_co_u32_e32 v3, vcc, v6, v3, vcc
	global_store_dword v[2:3], v1, off
	v_add_u32_e32 v12, 0xd8, v8
	ds_read2_b32 v[0:1], v0 offset0:88 offset1:196
	v_lshlrev_b64 v[2:3], 2, v[12:13]
	v_add_u32_e32 v12, 0x144, v8
	v_add_co_u32_e32 v2, vcc, v5, v2
	v_addc_co_u32_e32 v3, vcc, v6, v3, vcc
	s_waitcnt lgkmcnt(0)
	global_store_dword v[2:3], v0, off
	v_lshlrev_b64 v[2:3], 2, v[12:13]
	v_add_u32_e32 v0, 0x600, v4
	v_add_co_u32_e32 v2, vcc, v5, v2
	v_addc_co_u32_e32 v3, vcc, v6, v3, vcc
	global_store_dword v[2:3], v1, off
	v_add_u32_e32 v12, 0x1b0, v8
	ds_read2_b32 v[0:1], v0 offset0:48 offset1:156
	;; [unrolled: 13-line block ×14, first 2 shown]
	v_lshlrev_b64 v[2:3], 2, v[12:13]
	v_add_u32_e32 v12, 0xc3c, v8
	v_add_co_u32_e32 v2, vcc, v5, v2
	v_addc_co_u32_e32 v3, vcc, v6, v3, vcc
	s_waitcnt lgkmcnt(0)
	global_store_dword v[2:3], v0, off
	v_lshlrev_b64 v[2:3], 2, v[12:13]
	v_add_co_u32_e32 v2, vcc, v5, v2
	v_addc_co_u32_e32 v3, vcc, v6, v3, vcc
	global_store_dword v[2:3], v1, off
.LBB0_19:
	s_endpgm
	.section	.rodata,"a",@progbits
	.p2align	6, 0x0
	.amdhsa_kernel fft_rtc_back_len3240_factors_3_3_10_6_6_wgs_108_tpt_108_halfLds_half_ip_CI_unitstride_sbrr_C2R_dirReg
		.amdhsa_group_segment_fixed_size 0
		.amdhsa_private_segment_fixed_size 0
		.amdhsa_kernarg_size 88
		.amdhsa_user_sgpr_count 6
		.amdhsa_user_sgpr_private_segment_buffer 1
		.amdhsa_user_sgpr_dispatch_ptr 0
		.amdhsa_user_sgpr_queue_ptr 0
		.amdhsa_user_sgpr_kernarg_segment_ptr 1
		.amdhsa_user_sgpr_dispatch_id 0
		.amdhsa_user_sgpr_flat_scratch_init 0
		.amdhsa_user_sgpr_private_segment_size 0
		.amdhsa_uses_dynamic_stack 0
		.amdhsa_system_sgpr_private_segment_wavefront_offset 0
		.amdhsa_system_sgpr_workgroup_id_x 1
		.amdhsa_system_sgpr_workgroup_id_y 0
		.amdhsa_system_sgpr_workgroup_id_z 0
		.amdhsa_system_sgpr_workgroup_info 0
		.amdhsa_system_vgpr_workitem_id 0
		.amdhsa_next_free_vgpr 112
		.amdhsa_next_free_sgpr 22
		.amdhsa_reserve_vcc 1
		.amdhsa_reserve_flat_scratch 0
		.amdhsa_float_round_mode_32 0
		.amdhsa_float_round_mode_16_64 0
		.amdhsa_float_denorm_mode_32 3
		.amdhsa_float_denorm_mode_16_64 3
		.amdhsa_dx10_clamp 1
		.amdhsa_ieee_mode 1
		.amdhsa_fp16_overflow 0
		.amdhsa_exception_fp_ieee_invalid_op 0
		.amdhsa_exception_fp_denorm_src 0
		.amdhsa_exception_fp_ieee_div_zero 0
		.amdhsa_exception_fp_ieee_overflow 0
		.amdhsa_exception_fp_ieee_underflow 0
		.amdhsa_exception_fp_ieee_inexact 0
		.amdhsa_exception_int_div_zero 0
	.end_amdhsa_kernel
	.text
.Lfunc_end0:
	.size	fft_rtc_back_len3240_factors_3_3_10_6_6_wgs_108_tpt_108_halfLds_half_ip_CI_unitstride_sbrr_C2R_dirReg, .Lfunc_end0-fft_rtc_back_len3240_factors_3_3_10_6_6_wgs_108_tpt_108_halfLds_half_ip_CI_unitstride_sbrr_C2R_dirReg
                                        ; -- End function
	.section	.AMDGPU.csdata,"",@progbits
; Kernel info:
; codeLenInByte = 20428
; NumSgprs: 26
; NumVgprs: 112
; ScratchSize: 0
; MemoryBound: 0
; FloatMode: 240
; IeeeMode: 1
; LDSByteSize: 0 bytes/workgroup (compile time only)
; SGPRBlocks: 3
; VGPRBlocks: 27
; NumSGPRsForWavesPerEU: 26
; NumVGPRsForWavesPerEU: 112
; Occupancy: 2
; WaveLimiterHint : 1
; COMPUTE_PGM_RSRC2:SCRATCH_EN: 0
; COMPUTE_PGM_RSRC2:USER_SGPR: 6
; COMPUTE_PGM_RSRC2:TRAP_HANDLER: 0
; COMPUTE_PGM_RSRC2:TGID_X_EN: 1
; COMPUTE_PGM_RSRC2:TGID_Y_EN: 0
; COMPUTE_PGM_RSRC2:TGID_Z_EN: 0
; COMPUTE_PGM_RSRC2:TIDIG_COMP_CNT: 0
	.type	__hip_cuid_77661a60997ef312,@object ; @__hip_cuid_77661a60997ef312
	.section	.bss,"aw",@nobits
	.globl	__hip_cuid_77661a60997ef312
__hip_cuid_77661a60997ef312:
	.byte	0                               ; 0x0
	.size	__hip_cuid_77661a60997ef312, 1

	.ident	"AMD clang version 19.0.0git (https://github.com/RadeonOpenCompute/llvm-project roc-6.4.0 25133 c7fe45cf4b819c5991fe208aaa96edf142730f1d)"
	.section	".note.GNU-stack","",@progbits
	.addrsig
	.addrsig_sym __hip_cuid_77661a60997ef312
	.amdgpu_metadata
---
amdhsa.kernels:
  - .args:
      - .actual_access:  read_only
        .address_space:  global
        .offset:         0
        .size:           8
        .value_kind:     global_buffer
      - .offset:         8
        .size:           8
        .value_kind:     by_value
      - .actual_access:  read_only
        .address_space:  global
        .offset:         16
        .size:           8
        .value_kind:     global_buffer
      - .actual_access:  read_only
        .address_space:  global
        .offset:         24
        .size:           8
        .value_kind:     global_buffer
      - .offset:         32
        .size:           8
        .value_kind:     by_value
      - .actual_access:  read_only
        .address_space:  global
        .offset:         40
        .size:           8
        .value_kind:     global_buffer
      - .actual_access:  read_only
        .address_space:  global
        .offset:         48
        .size:           8
        .value_kind:     global_buffer
      - .offset:         56
        .size:           4
        .value_kind:     by_value
      - .actual_access:  read_only
        .address_space:  global
        .offset:         64
        .size:           8
        .value_kind:     global_buffer
      - .actual_access:  read_only
        .address_space:  global
        .offset:         72
        .size:           8
        .value_kind:     global_buffer
      - .address_space:  global
        .offset:         80
        .size:           8
        .value_kind:     global_buffer
    .group_segment_fixed_size: 0
    .kernarg_segment_align: 8
    .kernarg_segment_size: 88
    .language:       OpenCL C
    .language_version:
      - 2
      - 0
    .max_flat_workgroup_size: 108
    .name:           fft_rtc_back_len3240_factors_3_3_10_6_6_wgs_108_tpt_108_halfLds_half_ip_CI_unitstride_sbrr_C2R_dirReg
    .private_segment_fixed_size: 0
    .sgpr_count:     26
    .sgpr_spill_count: 0
    .symbol:         fft_rtc_back_len3240_factors_3_3_10_6_6_wgs_108_tpt_108_halfLds_half_ip_CI_unitstride_sbrr_C2R_dirReg.kd
    .uniform_work_group_size: 1
    .uses_dynamic_stack: false
    .vgpr_count:     112
    .vgpr_spill_count: 0
    .wavefront_size: 64
amdhsa.target:   amdgcn-amd-amdhsa--gfx906
amdhsa.version:
  - 1
  - 2
...

	.end_amdgpu_metadata
